;; amdgpu-corpus repo=ROCm/rocFFT kind=compiled arch=gfx1030 opt=O3
	.text
	.amdgcn_target "amdgcn-amd-amdhsa--gfx1030"
	.amdhsa_code_object_version 6
	.protected	fft_rtc_fwd_len2700_factors_3_10_10_3_3_wgs_90_tpt_90_halfLds_sp_op_CI_CI_sbrr_dirReg ; -- Begin function fft_rtc_fwd_len2700_factors_3_10_10_3_3_wgs_90_tpt_90_halfLds_sp_op_CI_CI_sbrr_dirReg
	.globl	fft_rtc_fwd_len2700_factors_3_10_10_3_3_wgs_90_tpt_90_halfLds_sp_op_CI_CI_sbrr_dirReg
	.p2align	8
	.type	fft_rtc_fwd_len2700_factors_3_10_10_3_3_wgs_90_tpt_90_halfLds_sp_op_CI_CI_sbrr_dirReg,@function
fft_rtc_fwd_len2700_factors_3_10_10_3_3_wgs_90_tpt_90_halfLds_sp_op_CI_CI_sbrr_dirReg: ; @fft_rtc_fwd_len2700_factors_3_10_10_3_3_wgs_90_tpt_90_halfLds_sp_op_CI_CI_sbrr_dirReg
; %bb.0:
	s_clause 0x2
	s_load_dwordx4 s[16:19], s[4:5], 0x18
	s_load_dwordx4 s[12:15], s[4:5], 0x0
	;; [unrolled: 1-line block ×3, first 2 shown]
	v_mul_u32_u24_e32 v2, 0x2d9, v0
	v_mov_b32_e32 v1, 0
	v_mov_b32_e32 v48, 0
	;; [unrolled: 1-line block ×3, first 2 shown]
	s_waitcnt lgkmcnt(0)
	s_load_dwordx2 s[20:21], s[16:17], 0x0
	s_load_dwordx2 s[2:3], s[18:19], 0x0
	v_cmp_lt_u64_e64 s0, s[14:15], 2
	v_add_nc_u32_sdwa v3, s6, v2 dst_sel:DWORD dst_unused:UNUSED_PAD src0_sel:DWORD src1_sel:WORD_1
	v_mov_b32_e32 v4, v1
	s_and_b32 vcc_lo, exec_lo, s0
	s_cbranch_vccnz .LBB0_8
; %bb.1:
	s_load_dwordx2 s[0:1], s[4:5], 0x10
	v_mov_b32_e32 v48, 0
	v_mov_b32_e32 v49, 0
	s_add_u32 s6, s18, 8
	s_addc_u32 s7, s19, 0
	v_mov_b32_e32 v44, v48
	s_add_u32 s22, s16, 8
	v_mov_b32_e32 v45, v49
	s_addc_u32 s23, s17, 0
	s_mov_b64 s[26:27], 1
	s_waitcnt lgkmcnt(0)
	s_add_u32 s24, s0, 8
	s_addc_u32 s25, s1, 0
.LBB0_2:                                ; =>This Inner Loop Header: Depth=1
	s_load_dwordx2 s[28:29], s[24:25], 0x0
                                        ; implicit-def: $vgpr46_vgpr47
	s_mov_b32 s0, exec_lo
	s_waitcnt lgkmcnt(0)
	v_or_b32_e32 v2, s29, v4
	v_cmpx_ne_u64_e32 0, v[1:2]
	s_xor_b32 s1, exec_lo, s0
	s_cbranch_execz .LBB0_4
; %bb.3:                                ;   in Loop: Header=BB0_2 Depth=1
	v_cvt_f32_u32_e32 v2, s28
	v_cvt_f32_u32_e32 v5, s29
	s_sub_u32 s0, 0, s28
	s_subb_u32 s30, 0, s29
	v_fmac_f32_e32 v2, 0x4f800000, v5
	v_rcp_f32_e32 v2, v2
	v_mul_f32_e32 v2, 0x5f7ffffc, v2
	v_mul_f32_e32 v5, 0x2f800000, v2
	v_trunc_f32_e32 v5, v5
	v_fmac_f32_e32 v2, 0xcf800000, v5
	v_cvt_u32_f32_e32 v5, v5
	v_cvt_u32_f32_e32 v2, v2
	v_mul_lo_u32 v6, s0, v5
	v_mul_hi_u32 v7, s0, v2
	v_mul_lo_u32 v8, s30, v2
	v_add_nc_u32_e32 v6, v7, v6
	v_mul_lo_u32 v7, s0, v2
	v_add_nc_u32_e32 v6, v6, v8
	v_mul_hi_u32 v8, v2, v7
	v_mul_lo_u32 v9, v2, v6
	v_mul_hi_u32 v10, v2, v6
	v_mul_hi_u32 v11, v5, v7
	v_mul_lo_u32 v7, v5, v7
	v_mul_hi_u32 v12, v5, v6
	v_mul_lo_u32 v6, v5, v6
	v_add_co_u32 v8, vcc_lo, v8, v9
	v_add_co_ci_u32_e32 v9, vcc_lo, 0, v10, vcc_lo
	v_add_co_u32 v7, vcc_lo, v8, v7
	v_add_co_ci_u32_e32 v7, vcc_lo, v9, v11, vcc_lo
	v_add_co_ci_u32_e32 v8, vcc_lo, 0, v12, vcc_lo
	v_add_co_u32 v6, vcc_lo, v7, v6
	v_add_co_ci_u32_e32 v7, vcc_lo, 0, v8, vcc_lo
	v_add_co_u32 v2, vcc_lo, v2, v6
	v_add_co_ci_u32_e32 v5, vcc_lo, v5, v7, vcc_lo
	v_mul_hi_u32 v6, s0, v2
	v_mul_lo_u32 v8, s30, v2
	v_mul_lo_u32 v7, s0, v5
	v_add_nc_u32_e32 v6, v6, v7
	v_mul_lo_u32 v7, s0, v2
	v_add_nc_u32_e32 v6, v6, v8
	v_mul_hi_u32 v8, v2, v7
	v_mul_lo_u32 v9, v2, v6
	v_mul_hi_u32 v10, v2, v6
	v_mul_hi_u32 v11, v5, v7
	v_mul_lo_u32 v7, v5, v7
	v_mul_hi_u32 v12, v5, v6
	v_mul_lo_u32 v6, v5, v6
	v_add_co_u32 v8, vcc_lo, v8, v9
	v_add_co_ci_u32_e32 v9, vcc_lo, 0, v10, vcc_lo
	v_add_co_u32 v7, vcc_lo, v8, v7
	v_add_co_ci_u32_e32 v7, vcc_lo, v9, v11, vcc_lo
	v_add_co_ci_u32_e32 v8, vcc_lo, 0, v12, vcc_lo
	v_add_co_u32 v6, vcc_lo, v7, v6
	v_add_co_ci_u32_e32 v7, vcc_lo, 0, v8, vcc_lo
	v_add_co_u32 v2, vcc_lo, v2, v6
	v_add_co_ci_u32_e32 v9, vcc_lo, v5, v7, vcc_lo
	v_mul_hi_u32 v11, v3, v2
	v_mad_u64_u32 v[7:8], null, v4, v2, 0
	v_mad_u64_u32 v[5:6], null, v3, v9, 0
	v_mad_u64_u32 v[9:10], null, v4, v9, 0
	v_add_co_u32 v2, vcc_lo, v11, v5
	v_add_co_ci_u32_e32 v5, vcc_lo, 0, v6, vcc_lo
	v_add_co_u32 v2, vcc_lo, v2, v7
	v_add_co_ci_u32_e32 v2, vcc_lo, v5, v8, vcc_lo
	v_add_co_ci_u32_e32 v5, vcc_lo, 0, v10, vcc_lo
	v_add_co_u32 v2, vcc_lo, v2, v9
	v_add_co_ci_u32_e32 v7, vcc_lo, 0, v5, vcc_lo
	v_mul_lo_u32 v8, s29, v2
	v_mad_u64_u32 v[5:6], null, s28, v2, 0
	v_mul_lo_u32 v9, s28, v7
	v_sub_co_u32 v5, vcc_lo, v3, v5
	v_add3_u32 v6, v6, v9, v8
	v_sub_nc_u32_e32 v8, v4, v6
	v_subrev_co_ci_u32_e64 v8, s0, s29, v8, vcc_lo
	v_add_co_u32 v9, s0, v2, 2
	v_add_co_ci_u32_e64 v10, s0, 0, v7, s0
	v_sub_co_u32 v11, s0, v5, s28
	v_sub_co_ci_u32_e32 v6, vcc_lo, v4, v6, vcc_lo
	v_subrev_co_ci_u32_e64 v8, s0, 0, v8, s0
	v_cmp_le_u32_e32 vcc_lo, s28, v11
	v_cmp_eq_u32_e64 s0, s29, v6
	v_cndmask_b32_e64 v11, 0, -1, vcc_lo
	v_cmp_le_u32_e32 vcc_lo, s29, v8
	v_cndmask_b32_e64 v12, 0, -1, vcc_lo
	v_cmp_le_u32_e32 vcc_lo, s28, v5
	;; [unrolled: 2-line block ×3, first 2 shown]
	v_cndmask_b32_e64 v13, 0, -1, vcc_lo
	v_cmp_eq_u32_e32 vcc_lo, s29, v8
	v_cndmask_b32_e64 v5, v13, v5, s0
	v_cndmask_b32_e32 v8, v12, v11, vcc_lo
	v_add_co_u32 v11, vcc_lo, v2, 1
	v_add_co_ci_u32_e32 v12, vcc_lo, 0, v7, vcc_lo
	v_cmp_ne_u32_e32 vcc_lo, 0, v8
	v_cndmask_b32_e32 v6, v12, v10, vcc_lo
	v_cndmask_b32_e32 v8, v11, v9, vcc_lo
	v_cmp_ne_u32_e32 vcc_lo, 0, v5
	v_cndmask_b32_e32 v47, v7, v6, vcc_lo
	v_cndmask_b32_e32 v46, v2, v8, vcc_lo
.LBB0_4:                                ;   in Loop: Header=BB0_2 Depth=1
	s_andn2_saveexec_b32 s0, s1
	s_cbranch_execz .LBB0_6
; %bb.5:                                ;   in Loop: Header=BB0_2 Depth=1
	v_cvt_f32_u32_e32 v2, s28
	s_sub_i32 s1, 0, s28
	v_mov_b32_e32 v47, v1
	v_rcp_iflag_f32_e32 v2, v2
	v_mul_f32_e32 v2, 0x4f7ffffe, v2
	v_cvt_u32_f32_e32 v2, v2
	v_mul_lo_u32 v5, s1, v2
	v_mul_hi_u32 v5, v2, v5
	v_add_nc_u32_e32 v2, v2, v5
	v_mul_hi_u32 v2, v3, v2
	v_mul_lo_u32 v5, v2, s28
	v_add_nc_u32_e32 v6, 1, v2
	v_sub_nc_u32_e32 v5, v3, v5
	v_subrev_nc_u32_e32 v7, s28, v5
	v_cmp_le_u32_e32 vcc_lo, s28, v5
	v_cndmask_b32_e32 v5, v5, v7, vcc_lo
	v_cndmask_b32_e32 v2, v2, v6, vcc_lo
	v_cmp_le_u32_e32 vcc_lo, s28, v5
	v_add_nc_u32_e32 v6, 1, v2
	v_cndmask_b32_e32 v46, v2, v6, vcc_lo
.LBB0_6:                                ;   in Loop: Header=BB0_2 Depth=1
	s_or_b32 exec_lo, exec_lo, s0
	v_mul_lo_u32 v2, v47, s28
	v_mul_lo_u32 v7, v46, s29
	s_load_dwordx2 s[0:1], s[22:23], 0x0
	v_mad_u64_u32 v[5:6], null, v46, s28, 0
	s_load_dwordx2 s[28:29], s[6:7], 0x0
	s_add_u32 s26, s26, 1
	s_addc_u32 s27, s27, 0
	s_add_u32 s6, s6, 8
	s_addc_u32 s7, s7, 0
	s_add_u32 s22, s22, 8
	v_add3_u32 v2, v6, v7, v2
	v_sub_co_u32 v3, vcc_lo, v3, v5
	s_addc_u32 s23, s23, 0
	s_add_u32 s24, s24, 8
	v_sub_co_ci_u32_e32 v2, vcc_lo, v4, v2, vcc_lo
	s_addc_u32 s25, s25, 0
	s_waitcnt lgkmcnt(0)
	v_mul_lo_u32 v4, s0, v2
	v_mul_lo_u32 v5, s1, v3
	v_mad_u64_u32 v[48:49], null, s0, v3, v[48:49]
	v_mul_lo_u32 v2, s28, v2
	v_mul_lo_u32 v6, s29, v3
	v_mad_u64_u32 v[44:45], null, s28, v3, v[44:45]
	v_cmp_ge_u64_e64 s0, s[26:27], s[14:15]
	v_add3_u32 v49, v5, v49, v4
	v_add3_u32 v45, v6, v45, v2
	s_and_b32 vcc_lo, exec_lo, s0
	s_cbranch_vccnz .LBB0_9
; %bb.7:                                ;   in Loop: Header=BB0_2 Depth=1
	v_mov_b32_e32 v3, v46
	v_mov_b32_e32 v4, v47
	s_branch .LBB0_2
.LBB0_8:
	v_mov_b32_e32 v44, v48
	v_mov_b32_e32 v47, v4
	;; [unrolled: 1-line block ×4, first 2 shown]
.LBB0_9:
	s_load_dwordx2 s[0:1], s[4:5], 0x28
	v_mul_hi_u32 v2, 0x2d82d83, v0
	s_lshl_b64 s[6:7], s[14:15], 3
                                        ; implicit-def: $vgpr83
                                        ; implicit-def: $vgpr110
                                        ; implicit-def: $vgpr111
                                        ; implicit-def: $vgpr84
                                        ; implicit-def: $vgpr85
                                        ; implicit-def: $vgpr86
                                        ; implicit-def: $vgpr87
                                        ; implicit-def: $vgpr88
                                        ; implicit-def: $vgpr89
                                        ; implicit-def: $vgpr90
	s_add_u32 s4, s18, s6
	s_addc_u32 s5, s19, s7
	s_waitcnt lgkmcnt(0)
	v_cmp_gt_u64_e32 vcc_lo, s[0:1], v[46:47]
	v_cmp_le_u64_e64 s0, s[0:1], v[46:47]
	s_and_saveexec_b32 s1, s0
	s_xor_b32 s0, exec_lo, s1
; %bb.10:
	v_mul_u32_u24_e32 v1, 0x5a, v2
                                        ; implicit-def: $vgpr2
                                        ; implicit-def: $vgpr48_vgpr49
	v_sub_nc_u32_e32 v83, v0, v1
                                        ; implicit-def: $vgpr0
	v_add_nc_u32_e32 v110, 0x5a, v83
	v_add_nc_u32_e32 v111, 0xb4, v83
	;; [unrolled: 1-line block ×9, first 2 shown]
; %bb.11:
	s_or_saveexec_b32 s1, s0
                                        ; implicit-def: $vgpr5
                                        ; implicit-def: $vgpr7
                                        ; implicit-def: $vgpr1
                                        ; implicit-def: $vgpr9
                                        ; implicit-def: $vgpr11
                                        ; implicit-def: $vgpr3
                                        ; implicit-def: $vgpr19
                                        ; implicit-def: $vgpr23
                                        ; implicit-def: $vgpr13
                                        ; implicit-def: $vgpr21
                                        ; implicit-def: $vgpr25
                                        ; implicit-def: $vgpr15
                                        ; implicit-def: $vgpr31
                                        ; implicit-def: $vgpr33
                                        ; implicit-def: $vgpr17
                                        ; implicit-def: $vgpr35
                                        ; implicit-def: $vgpr37
                                        ; implicit-def: $vgpr27
                                        ; implicit-def: $vgpr39
                                        ; implicit-def: $vgpr41
                                        ; implicit-def: $vgpr29
                                        ; implicit-def: $vgpr72
                                        ; implicit-def: $vgpr76
                                        ; implicit-def: $vgpr43
                                        ; implicit-def: $vgpr74
                                        ; implicit-def: $vgpr78
                                        ; implicit-def: $vgpr68
                                        ; implicit-def: $vgpr52
                                        ; implicit-def: $vgpr50
                                        ; implicit-def: $vgpr70
	s_xor_b32 exec_lo, exec_lo, s1
	s_cbranch_execz .LBB0_13
; %bb.12:
	s_add_u32 s6, s16, s6
	s_addc_u32 s7, s17, s7
	v_mul_u32_u24_e32 v1, 0x5a, v2
	s_load_dwordx2 s[6:7], s[6:7], 0x0
	v_lshlrev_b64 v[2:3], 3, v[48:49]
	v_sub_nc_u32_e32 v83, v0, v1
	v_add_nc_u32_e32 v13, 0x384, v83
	v_mad_u64_u32 v[0:1], null, s20, v83, 0
	v_add_nc_u32_e32 v16, 0x708, v83
	v_add_nc_u32_e32 v110, 0x5a, v83
	v_mad_u64_u32 v[4:5], null, s20, v13, 0
	v_add_nc_u32_e32 v18, 0x3de, v83
	v_mad_u64_u32 v[6:7], null, s20, v16, 0
	v_mad_u64_u32 v[10:11], null, s21, v83, v[1:2]
	s_waitcnt lgkmcnt(0)
	v_mul_lo_u32 v14, s7, v46
	v_mul_lo_u32 v15, s6, v47
	v_mad_u64_u32 v[8:9], null, s6, v46, 0
	v_mov_b32_e32 v1, v5
	v_mad_u64_u32 v[11:12], null, s20, v110, 0
	v_mov_b32_e32 v5, v7
	v_add_nc_u32_e32 v111, 0xb4, v83
	v_add_nc_u32_e32 v22, 0x438, v83
	v_add3_u32 v9, v9, v15, v14
	v_mad_u64_u32 v[13:14], null, s21, v13, v[1:2]
	v_mov_b32_e32 v1, v10
	v_mad_u64_u32 v[14:15], null, s20, v18, 0
	v_lshlrev_b64 v[7:8], 3, v[8:9]
	v_mad_u64_u32 v[9:10], null, s21, v16, v[5:6]
	v_mov_b32_e32 v10, v12
	v_mov_b32_e32 v5, v13
	v_lshlrev_b64 v[0:1], 3, v[0:1]
	v_add_co_u32 v12, s0, s8, v7
	v_add_co_ci_u32_e64 v13, s0, s9, v8, s0
	v_mov_b32_e32 v7, v9
	v_add_co_u32 v8, s0, v12, v2
	v_add_co_ci_u32_e64 v9, s0, v13, v3, s0
	v_lshlrev_b64 v[2:3], 3, v[4:5]
	v_mad_u64_u32 v[4:5], null, s21, v110, v[10:11]
	v_add_nc_u32_e32 v13, 0x762, v83
	v_add_co_u32 v0, s0, v8, v0
	v_lshlrev_b64 v[5:6], 3, v[6:7]
	v_add_co_ci_u32_e64 v1, s0, v9, v1, s0
	v_add_co_u32 v2, s0, v8, v2
	v_mov_b32_e32 v7, v15
	v_mov_b32_e32 v12, v4
	v_mad_u64_u32 v[16:17], null, s20, v13, 0
	v_add_co_ci_u32_e64 v3, s0, v9, v3, s0
	v_add_co_u32 v4, s0, v8, v5
	v_mad_u64_u32 v[18:19], null, s21, v18, v[7:8]
	v_add_co_ci_u32_e64 v5, s0, v9, v6, s0
	v_lshlrev_b64 v[6:7], 3, v[11:12]
	v_mad_u64_u32 v[11:12], null, s20, v111, 0
	v_mov_b32_e32 v10, v17
	v_mov_b32_e32 v15, v18
	v_add_nc_u32_e32 v24, 0x7bc, v83
	v_add_nc_u32_e32 v84, 0x10e, v83
	v_add_co_u32 v6, s0, v8, v6
	v_mad_u64_u32 v[17:18], null, s21, v13, v[10:11]
	v_mov_b32_e32 v10, v12
	v_mad_u64_u32 v[18:19], null, s20, v22, 0
	v_lshlrev_b64 v[13:14], 3, v[14:15]
	v_add_co_ci_u32_e64 v7, s0, v9, v7, s0
	v_mad_u64_u32 v[20:21], null, s21, v111, v[10:11]
	v_add_nc_u32_e32 v28, 0x492, v83
	v_mov_b32_e32 v10, v19
	v_add_co_u32 v13, s0, v8, v13
	v_add_nc_u32_e32 v30, 0x816, v83
	v_add_nc_u32_e32 v85, 0x168, v83
	v_mov_b32_e32 v12, v20
	v_mad_u64_u32 v[20:21], null, s20, v24, 0
	v_mad_u64_u32 v[22:23], null, s21, v22, v[10:11]
	v_lshlrev_b64 v[10:11], 3, v[11:12]
	v_add_nc_u32_e32 v35, 0x4ec, v83
	v_lshlrev_b64 v[15:16], 3, v[16:17]
	v_add_nc_u32_e32 v36, 0x870, v83
	v_mov_b32_e32 v12, v21
	v_add_co_ci_u32_e64 v14, s0, v9, v14, s0
	v_mov_b32_e32 v19, v22
	v_mad_u64_u32 v[22:23], null, s20, v84, 0
	v_mad_u64_u32 v[24:25], null, s21, v24, v[12:13]
	v_add_co_u32 v15, s0, v8, v15
	v_lshlrev_b64 v[17:18], 3, v[18:19]
	v_add_co_ci_u32_e64 v16, s0, v9, v16, s0
	v_mov_b32_e32 v12, v23
	v_mov_b32_e32 v21, v24
	v_mad_u64_u32 v[24:25], null, s20, v28, 0
	v_add_co_u32 v10, s0, v8, v10
	v_mad_u64_u32 v[26:27], null, s21, v84, v[12:13]
	v_lshlrev_b64 v[19:20], 3, v[20:21]
	v_add_co_ci_u32_e64 v11, s0, v9, v11, s0
	v_mov_b32_e32 v12, v25
	v_add_co_u32 v17, s0, v8, v17
	v_mov_b32_e32 v23, v26
	v_mad_u64_u32 v[26:27], null, s20, v30, 0
	v_mad_u64_u32 v[28:29], null, s21, v28, v[12:13]
	v_lshlrev_b64 v[21:22], 3, v[22:23]
	v_add_co_ci_u32_e64 v18, s0, v9, v18, s0
	v_add_co_u32 v19, s0, v8, v19
	v_mov_b32_e32 v12, v27
	v_mov_b32_e32 v25, v28
	v_mad_u64_u32 v[28:29], null, s20, v85, 0
	v_add_nc_u32_e32 v86, 0x1c2, v83
	v_mad_u64_u32 v[30:31], null, s21, v30, v[12:13]
	v_lshlrev_b64 v[23:24], 3, v[24:25]
	v_add_co_ci_u32_e64 v20, s0, v9, v20, s0
	v_mov_b32_e32 v12, v29
	v_add_co_u32 v21, s0, v8, v21
	v_mov_b32_e32 v27, v30
	v_mad_u64_u32 v[30:31], null, s20, v35, 0
	v_mad_u64_u32 v[32:33], null, s21, v85, v[12:13]
	;; [unrolled: 1-line block ×3, first 2 shown]
	v_lshlrev_b64 v[25:26], 3, v[26:27]
	v_add_co_ci_u32_e64 v22, s0, v9, v22, s0
	v_mov_b32_e32 v12, v31
	v_mov_b32_e32 v29, v32
	v_add_co_u32 v23, s0, v8, v23
	v_add_co_ci_u32_e64 v24, s0, v9, v24, s0
	v_mad_u64_u32 v[31:32], null, s21, v35, v[12:13]
	v_mov_b32_e32 v12, v34
	v_lshlrev_b64 v[27:28], 3, v[28:29]
	v_add_co_u32 v25, s0, v8, v25
	v_add_nc_u32_e32 v39, 0x546, v83
	v_mad_u64_u32 v[34:35], null, s21, v36, v[12:13]
	v_mad_u64_u32 v[35:36], null, s20, v86, 0
	v_add_co_ci_u32_e64 v26, s0, v9, v26, s0
	v_add_co_u32 v53, s0, v8, v27
	v_add_co_ci_u32_e64 v54, s0, v9, v28, s0
	v_lshlrev_b64 v[27:28], 3, v[30:31]
	v_mov_b32_e32 v12, v36
	v_mad_u64_u32 v[29:30], null, s20, v39, 0
	v_add_nc_u32_e32 v40, 0x8ca, v83
	v_add_nc_u32_e32 v87, 0x21c, v83
	v_mad_u64_u32 v[31:32], null, s21, v86, v[12:13]
	v_add_co_u32 v55, s0, v8, v27
	v_mad_u64_u32 v[37:38], null, s20, v40, 0
	v_mov_b32_e32 v12, v30
	v_add_co_ci_u32_e64 v56, s0, v9, v28, s0
	v_mov_b32_e32 v36, v31
	v_lshlrev_b64 v[27:28], 3, v[33:34]
	v_mad_u64_u32 v[31:32], null, s21, v39, v[12:13]
	v_mov_b32_e32 v30, v38
	v_lshlrev_b64 v[32:33], 3, v[35:36]
	v_add_nc_u32_e32 v42, 0x5a0, v83
	v_add_co_u32 v57, s0, v8, v27
	v_add_co_ci_u32_e64 v58, s0, v9, v28, s0
	v_mad_u64_u32 v[34:35], null, s21, v40, v[30:31]
	v_mad_u64_u32 v[27:28], null, s20, v87, 0
	v_mov_b32_e32 v30, v31
	v_add_co_u32 v31, s0, v8, v32
	v_add_co_ci_u32_e64 v32, s0, v9, v33, s0
	v_mov_b32_e32 v38, v34
	v_mad_u64_u32 v[34:35], null, s20, v42, 0
	v_add_nc_u32_e32 v33, 0x924, v83
	v_lshlrev_b64 v[29:30], 3, v[29:30]
	v_mov_b32_e32 v12, v28
	v_lshlrev_b64 v[36:37], 3, v[37:38]
	v_add_nc_u32_e32 v88, 0x276, v83
	v_mad_u64_u32 v[38:39], null, s20, v33, 0
	v_mov_b32_e32 v28, v35
	v_mad_u64_u32 v[40:41], null, s21, v87, v[12:13]
	v_add_co_u32 v59, s0, v8, v29
	v_mad_u64_u32 v[41:42], null, s21, v42, v[28:29]
	v_mov_b32_e32 v12, v39
	v_mad_u64_u32 v[42:43], null, s20, v88, 0
	v_add_co_ci_u32_e64 v60, s0, v9, v30, s0
	v_mov_b32_e32 v28, v40
	v_mov_b32_e32 v35, v41
	v_mad_u64_u32 v[29:30], null, s21, v33, v[12:13]
	v_mov_b32_e32 v12, v43
	v_lshlrev_b64 v[27:28], 3, v[27:28]
	v_lshlrev_b64 v[33:34], 3, v[34:35]
	v_add_nc_u32_e32 v35, 0x5fa, v83
	v_add_co_u32 v61, s0, v8, v36
	v_mov_b32_e32 v39, v29
	v_add_nc_u32_e32 v40, 0x97e, v83
	v_mad_u64_u32 v[29:30], null, s20, v35, 0
	v_add_co_ci_u32_e64 v62, s0, v9, v37, s0
	v_add_co_u32 v63, s0, v8, v27
	v_mad_u64_u32 v[36:37], null, s21, v88, v[12:13]
	v_add_co_ci_u32_e64 v64, s0, v9, v28, s0
	v_lshlrev_b64 v[27:28], 3, v[38:39]
	v_mad_u64_u32 v[37:38], null, s20, v40, 0
	v_mov_b32_e32 v12, v30
	v_mov_b32_e32 v43, v36
	v_add_nc_u32_e32 v89, 0x2d0, v83
	v_add_co_u32 v65, s0, v8, v33
	v_mad_u64_u32 v[35:36], null, s21, v35, v[12:13]
	v_mov_b32_e32 v30, v38
	v_add_co_ci_u32_e64 v66, s0, v9, v34, s0
	v_lshlrev_b64 v[33:34], 3, v[42:43]
	v_add_co_u32 v79, s0, v8, v27
	v_mad_u64_u32 v[38:39], null, s21, v40, v[30:31]
	v_mad_u64_u32 v[39:40], null, s20, v89, 0
	v_mov_b32_e32 v30, v35
	v_add_nc_u32_e32 v35, 0x654, v83
	v_add_co_ci_u32_e64 v80, s0, v9, v28, s0
	v_add_co_u32 v81, s0, v8, v33
	v_add_co_ci_u32_e64 v82, s0, v9, v34, s0
	v_mov_b32_e32 v12, v40
	v_lshlrev_b64 v[27:28], 3, v[29:30]
	v_mad_u64_u32 v[33:34], null, s20, v35, 0
	v_add_nc_u32_e32 v90, 0x32a, v83
	v_mad_u64_u32 v[29:30], null, s21, v89, v[12:13]
	v_add_co_u32 v91, s0, v8, v27
	v_add_co_ci_u32_e64 v92, s0, v9, v28, s0
	v_lshlrev_b64 v[27:28], 3, v[37:38]
	v_add_nc_u32_e32 v37, 0x9d8, v83
	v_mov_b32_e32 v12, v34
	v_mov_b32_e32 v40, v29
	v_add_nc_u32_e32 v42, 0x6ae, v83
	v_add_nc_u32_e32 v43, 0xa32, v83
	v_mad_u64_u32 v[29:30], null, s20, v37, 0
	v_mad_u64_u32 v[34:35], null, s21, v35, v[12:13]
	;; [unrolled: 1-line block ×3, first 2 shown]
	v_add_co_u32 v93, s0, v8, v27
	v_mov_b32_e32 v12, v30
	v_add_co_ci_u32_e64 v94, s0, v9, v28, s0
	v_lshlrev_b64 v[27:28], 3, v[39:40]
	v_mov_b32_e32 v30, v36
	v_mad_u64_u32 v[36:37], null, s21, v37, v[12:13]
	v_mad_u64_u32 v[40:41], null, s20, v43, 0
	;; [unrolled: 1-line block ×4, first 2 shown]
	v_add_co_u32 v95, s0, v8, v27
	v_add_co_ci_u32_e64 v96, s0, v9, v28, s0
	v_lshlrev_b64 v[27:28], 3, v[33:34]
	v_mov_b32_e32 v33, v41
	v_mov_b32_e32 v12, v39
	;; [unrolled: 1-line block ×4, first 2 shown]
	v_mad_u64_u32 v[33:34], null, s21, v43, v[33:34]
	v_mad_u64_u32 v[41:42], null, s21, v42, v[12:13]
	v_lshlrev_b64 v[29:30], 3, v[29:30]
	v_add_co_u32 v97, s0, v8, v27
	v_add_co_ci_u32_e64 v98, s0, v9, v28, s0
	v_lshlrev_b64 v[27:28], 3, v[35:36]
	v_mov_b32_e32 v39, v41
	v_add_co_u32 v99, s0, v8, v29
	v_mov_b32_e32 v41, v33
	v_add_co_ci_u32_e64 v100, s0, v9, v30, s0
	v_lshlrev_b64 v[29:30], 3, v[38:39]
	v_add_co_u32 v101, s0, v8, v27
	v_add_co_ci_u32_e64 v102, s0, v9, v28, s0
	v_lshlrev_b64 v[27:28], 3, v[40:41]
	v_add_co_u32 v103, s0, v8, v29
	v_add_co_ci_u32_e64 v104, s0, v9, v30, s0
	v_add_co_u32 v105, s0, v8, v27
	v_add_co_ci_u32_e64 v106, s0, v9, v28, s0
	s_clause 0x1d
	global_load_dwordx2 v[69:70], v[0:1], off
	global_load_dwordx2 v[49:50], v[2:3], off
	;; [unrolled: 1-line block ×30, first 2 shown]
.LBB0_13:
	s_or_b32 exec_lo, exec_lo, s1
	s_waitcnt vmcnt(27)
	v_add_f32_e32 v48, v51, v49
	v_add_f32_e32 v53, v49, v69
	v_sub_f32_e32 v54, v50, v52
	v_add_f32_e32 v55, v50, v70
	s_waitcnt vmcnt(24)
	v_add_f32_e32 v56, v73, v77
	v_fmac_f32_e32 v69, -0.5, v48
	v_sub_f32_e32 v118, v49, v51
	s_waitcnt vmcnt(21)
	v_add_f32_e32 v49, v71, v75
	v_add_f32_e32 v48, v77, v67
	;; [unrolled: 1-line block ×4, first 2 shown]
	v_fmamk_f32 v55, v54, 0x3f5db3d7, v69
	v_fmac_f32_e32 v67, -0.5, v56
	v_mad_u32_u24 v119, v83, 12, 0
	v_sub_f32_e32 v51, v78, v74
	v_fmac_f32_e32 v69, 0xbf5db3d7, v54
	v_add_f32_e32 v50, v52, v50
	v_add_f32_e32 v52, v75, v42
	v_fmac_f32_e32 v42, -0.5, v49
	v_sub_f32_e32 v49, v76, v72
	s_waitcnt vmcnt(18)
	v_add_f32_e32 v54, v38, v40
	v_add_f32_e32 v48, v73, v48
	ds_write2_b32 v119, v53, v55 offset1:1
	v_fmamk_f32 v53, v51, 0x3f5db3d7, v67
	v_mad_i32_i24 v123, v110, 12, 0
	v_fmac_f32_e32 v67, 0xbf5db3d7, v51
	v_fmamk_f32 v51, v49, 0x3f5db3d7, v42
	v_fmac_f32_e32 v42, 0xbf5db3d7, v49
	v_add_f32_e32 v49, v40, v28
	v_fmac_f32_e32 v28, -0.5, v54
	v_sub_f32_e32 v54, v41, v39
	v_add_f32_e32 v52, v71, v52
	ds_write_b32 v119, v69 offset:8
	ds_write2_b32 v123, v48, v53 offset1:1
	v_mad_i32_i24 v69, v111, 12, 0
	s_waitcnt vmcnt(15)
	v_add_f32_e32 v53, v34, v36
	v_add_f32_e32 v48, v38, v49
	v_fmamk_f32 v49, v54, 0x3f5db3d7, v28
	v_mad_i32_i24 v91, v84, 12, 0
	ds_write_b32 v123, v67 offset:8
	ds_write2_b32 v69, v52, v51 offset1:1
	ds_write_b32 v69, v42 offset:8
	ds_write2_b32 v91, v48, v49 offset1:1
	v_add_f32_e32 v42, v36, v26
	v_fmac_f32_e32 v26, -0.5, v53
	v_sub_f32_e32 v49, v37, v35
	s_waitcnt vmcnt(12)
	v_add_f32_e32 v48, v30, v32
	v_fmac_f32_e32 v28, 0xbf5db3d7, v54
	v_add_f32_e32 v42, v34, v42
	v_mad_i32_i24 v124, v85, 12, 0
	v_fmamk_f32 v52, v49, 0x3f5db3d7, v26
	v_fmac_f32_e32 v26, 0xbf5db3d7, v49
	v_add_f32_e32 v51, v32, v16
	v_fmac_f32_e32 v16, -0.5, v48
	v_sub_f32_e32 v48, v33, v31
	ds_write_b32 v91, v28 offset:8
	ds_write2_b32 v124, v42, v52 offset1:1
	ds_write_b32 v124, v26 offset:8
	s_waitcnt vmcnt(9)
	v_add_f32_e32 v26, v20, v24
	s_waitcnt vmcnt(6)
	v_add_f32_e32 v42, v18, v22
	v_add_f32_e32 v49, v30, v51
	v_fmamk_f32 v51, v48, 0x3f5db3d7, v16
	v_mad_i32_i24 v125, v86, 12, 0
	v_add_f32_e32 v28, v24, v14
	v_fmac_f32_e32 v16, 0xbf5db3d7, v48
	v_fmac_f32_e32 v14, -0.5, v26
	v_sub_f32_e32 v26, v25, v21
	v_add_f32_e32 v48, v22, v12
	v_fmac_f32_e32 v12, -0.5, v42
	v_sub_f32_e32 v42, v23, v19
	ds_write2_b32 v125, v49, v51 offset1:1
	v_fmamk_f32 v49, v26, 0x3f5db3d7, v14
	v_fmac_f32_e32 v14, 0xbf5db3d7, v26
	v_add_f32_e32 v26, v18, v48
	v_fmamk_f32 v48, v42, 0x3f5db3d7, v12
	v_mad_i32_i24 v126, v88, 12, 0
	v_add_f32_e32 v28, v20, v28
	v_mad_i32_i24 v92, v87, 12, 0
	ds_write_b32 v125, v16 offset:8
	ds_write2_b32 v92, v28, v49 offset1:1
	ds_write_b32 v92, v14 offset:8
	s_waitcnt vmcnt(3)
	v_add_f32_e32 v14, v8, v10
	ds_write2_b32 v126, v26, v48 offset1:1
	s_waitcnt vmcnt(0)
	v_add_f32_e32 v26, v4, v6
	v_add_f32_e32 v16, v10, v2
	;; [unrolled: 1-line block ×3, first 2 shown]
	v_fmac_f32_e32 v2, -0.5, v14
	v_sub_f32_e32 v14, v11, v9
	v_fmac_f32_e32 v0, -0.5, v26
	v_sub_f32_e32 v26, v7, v5
	v_fmac_f32_e32 v12, 0xbf5db3d7, v42
	v_mad_i32_i24 v128, v89, 12, 0
	v_fmamk_f32 v42, v14, 0x3f5db3d7, v2
	v_fmac_f32_e32 v2, 0xbf5db3d7, v14
	v_add_f32_e32 v14, v4, v28
	v_fmamk_f32 v28, v26, 0x3f5db3d7, v0
	v_mad_i32_i24 v93, v90, 12, 0
	v_fmac_f32_e32 v0, 0xbf5db3d7, v26
	v_fmac_f32_e32 v70, -0.5, v50
	v_lshlrev_b32_e32 v103, 3, v90
	v_lshlrev_b32_e32 v104, 3, v87
	v_lshl_add_u32 v94, v83, 2, 0
	v_add_f32_e32 v16, v8, v16
	v_lshlrev_b32_e32 v105, 3, v84
	ds_write_b32 v126, v12 offset:8
	ds_write2_b32 v128, v16, v42 offset1:1
	ds_write_b32 v128, v2 offset:8
	ds_write2_b32 v93, v14, v28 offset1:1
	ds_write_b32 v93, v0 offset:8
	v_sub_nc_u32_e32 v113, v93, v103
	v_sub_nc_u32_e32 v114, v92, v104
	v_add_nc_u32_e32 v109, 0x2600, v94
	v_fmamk_f32 v0, v118, 0xbf5db3d7, v70
	v_sub_nc_u32_e32 v112, v91, v105
	v_lshl_add_u32 v96, v110, 2, 0
	v_lshl_add_u32 v102, v111, 2, 0
	v_add_nc_u32_e32 v95, 0x1000, v94
	v_add_nc_u32_e32 v97, 0x1200, v94
	s_load_dwordx2 s[4:5], s[4:5], 0x0
	s_waitcnt lgkmcnt(0)
	s_barrier
	buffer_gl0_inv
	ds_read_b32 v129, v113
	v_add_nc_u32_e32 v107, 0x1800, v94
	v_add_nc_u32_e32 v98, 0x1c00, v94
	;; [unrolled: 1-line block ×4, first 2 shown]
	ds_read_b32 v122, v94
	ds_read_b32 v121, v96
	v_add_nc_u32_e32 v115, 0x400, v94
	v_add_nc_u32_e32 v116, 0x800, v94
	;; [unrolled: 1-line block ×5, first 2 shown]
	ds_read_b32 v130, v114
	ds_read_b32 v131, v112
	;; [unrolled: 1-line block ×3, first 2 shown]
	ds_read2_b32 v[66:67], v95 offset0:56 offset1:146
	ds_read2_b32 v[62:63], v97 offset0:108 offset1:198
	;; [unrolled: 1-line block ×12, first 2 shown]
	s_waitcnt lgkmcnt(0)
	s_barrier
	buffer_gl0_inv
	ds_write2_b32 v119, v117, v0 offset1:1
	v_add_f32_e32 v0, v74, v78
	v_add_f32_e32 v2, v78, v68
	;; [unrolled: 1-line block ×3, first 2 shown]
	v_sub_f32_e32 v14, v77, v73
	v_fmac_f32_e32 v70, 0x3f5db3d7, v118
	v_fmac_f32_e32 v68, -0.5, v0
	v_add_f32_e32 v0, v76, v43
	v_sub_f32_e32 v16, v75, v71
	v_fmac_f32_e32 v43, -0.5, v12
	v_add_f32_e32 v2, v74, v2
	v_fmamk_f32 v12, v14, 0xbf5db3d7, v68
	v_fmac_f32_e32 v68, 0x3f5db3d7, v14
	ds_write_b32 v119, v70 offset:8
	ds_write2_b32 v123, v2, v12 offset1:1
	v_add_f32_e32 v2, v39, v41
	v_add_f32_e32 v0, v72, v0
	v_fmamk_f32 v14, v16, 0xbf5db3d7, v43
	ds_write_b32 v123, v68 offset:8
	ds_write2_b32 v69, v0, v14 offset1:1
	v_add_f32_e32 v0, v41, v29
	v_fmac_f32_e32 v29, -0.5, v2
	v_add_f32_e32 v2, v35, v37
	v_add_f32_e32 v26, v31, v33
	v_sub_f32_e32 v12, v40, v38
	v_fmac_f32_e32 v43, 0x3f5db3d7, v16
	v_add_f32_e32 v14, v37, v27
	v_sub_f32_e32 v16, v36, v34
	v_fmac_f32_e32 v27, -0.5, v2
	v_add_f32_e32 v2, v33, v17
	v_sub_f32_e32 v30, v32, v30
	v_fmac_f32_e32 v17, -0.5, v26
	v_add_f32_e32 v0, v39, v0
	v_fmamk_f32 v28, v12, 0xbf5db3d7, v29
	v_fmac_f32_e32 v29, 0x3f5db3d7, v12
	v_add_f32_e32 v14, v35, v14
	v_fmamk_f32 v12, v16, 0xbf5db3d7, v27
	v_fmac_f32_e32 v27, 0x3f5db3d7, v16
	v_add_f32_e32 v2, v31, v2
	v_fmamk_f32 v16, v30, 0xbf5db3d7, v17
	ds_write_b32 v69, v43 offset:8
	ds_write2_b32 v91, v0, v28 offset1:1
	ds_write_b32 v91, v29 offset:8
	ds_write2_b32 v124, v14, v12 offset1:1
	;; [unrolled: 2-line block ×3, first 2 shown]
	v_add_f32_e32 v0, v21, v25
	v_add_f32_e32 v12, v19, v23
	;; [unrolled: 1-line block ×3, first 2 shown]
	v_sub_f32_e32 v14, v24, v20
	v_sub_f32_e32 v16, v22, v18
	v_fmac_f32_e32 v15, -0.5, v0
	v_add_f32_e32 v0, v23, v13
	v_fmac_f32_e32 v13, -0.5, v12
	v_fmac_f32_e32 v17, 0x3f5db3d7, v30
	v_add_f32_e32 v2, v21, v2
	v_fmamk_f32 v12, v14, 0xbf5db3d7, v15
	v_fmac_f32_e32 v15, 0x3f5db3d7, v14
	v_add_f32_e32 v0, v19, v0
	v_fmamk_f32 v14, v16, 0xbf5db3d7, v13
	ds_write_b32 v125, v17 offset:8
	ds_write2_b32 v92, v2, v12 offset1:1
	ds_write_b32 v92, v15 offset:8
	v_and_b32_e32 v118, 0xff, v110
	v_add_f32_e32 v2, v11, v3
	v_sub_f32_e32 v8, v10, v8
	ds_write2_b32 v126, v0, v14 offset1:1
	v_add_f32_e32 v0, v9, v11
	v_mul_lo_u16 v10, 0xab, v118
	v_sub_f32_e32 v4, v6, v4
	v_fmac_f32_e32 v13, 0x3f5db3d7, v16
	v_mov_b32_e32 v117, 9
	v_fmac_f32_e32 v3, -0.5, v0
	v_add_f32_e32 v0, v9, v2
	v_mov_b32_e32 v9, 0xaaab
	v_add_f32_e32 v2, v7, v1
	v_lshrrev_b16 v132, 9, v10
	v_add_f32_e32 v7, v5, v7
	v_fmamk_f32 v10, v8, 0xbf5db3d7, v3
	v_mul_u32_u24_sdwa v6, v111, v9 dst_sel:DWORD dst_unused:UNUSED_PAD src0_sel:WORD_0 src1_sel:DWORD
	v_add_f32_e32 v2, v5, v2
	v_mul_lo_u16 v5, v132, 3
	v_fmac_f32_e32 v1, -0.5, v7
	v_fmac_f32_e32 v3, 0x3f5db3d7, v8
	v_lshrrev_b32_e32 v127, 17, v6
	ds_write_b32 v126, v13 offset:8
	v_sub_nc_u16 v133, v110, v5
	ds_write2_b32 v128, v0, v10 offset1:1
	v_fmamk_f32 v0, v4, 0xbf5db3d7, v1
	v_mul_lo_u16 v5, v127, 3
	ds_write_b32 v128, v3 offset:8
	v_fmac_f32_e32 v1, 0x3f5db3d7, v4
	v_mul_u32_u24_sdwa v4, v133, v117 dst_sel:DWORD dst_unused:UNUSED_PAD src0_sel:BYTE_0 src1_sel:DWORD
	v_and_b32_e32 v119, 0xff, v83
	v_sub_nc_u16 v128, v111, v5
	ds_write2_b32 v93, v2, v0 offset1:1
	ds_write_b32 v93, v1 offset:8
	v_lshlrev_b32_e32 v68, 3, v4
	v_mul_lo_u16 v3, 0xab, v119
	v_mul_u32_u24_sdwa v0, v128, v117 dst_sel:DWORD dst_unused:UNUSED_PAD src0_sel:WORD_0 src1_sel:DWORD
	s_waitcnt lgkmcnt(0)
	s_barrier
	buffer_gl0_inv
	v_lshrrev_b16 v134, 9, v3
	v_lshlrev_b32_e32 v72, 3, v0
	s_clause 0x1
	global_load_dwordx4 v[140:143], v68, s[12:13]
	global_load_dwordx4 v[20:23], v72, s[12:13]
	v_mul_lo_u16 v0, v134, 3
	v_sub_nc_u16 v135, v83, v0
	v_mul_u32_u24_sdwa v0, v135, v117 dst_sel:DWORD dst_unused:UNUSED_PAD src0_sel:BYTE_0 src1_sel:DWORD
	v_lshlrev_b32_e32 v69, 3, v0
	s_clause 0xc
	global_load_dwordx4 v[16:19], v69, s[12:13]
	global_load_dwordx4 v[12:15], v69, s[12:13] offset:16
	global_load_dwordx4 v[8:11], v68, s[12:13] offset:16
	;; [unrolled: 1-line block ×9, first 2 shown]
	global_load_dwordx2 v[70:71], v69, s[12:13] offset:64
	global_load_dwordx2 v[68:69], v68, s[12:13] offset:64
	;; [unrolled: 1-line block ×3, first 2 shown]
	ds_read2_b32 v[144:145], v115 offset0:104 offset1:194
	ds_read2_b32 v[77:78], v116 offset0:118 offset1:208
	ds_read_b32 v138, v114
	ds_read_b32 v137, v113
	;; [unrolled: 1-line block ×3, first 2 shown]
	s_waitcnt vmcnt(14)
	v_mul_f32_e32 v125, v79, v143
	s_waitcnt lgkmcnt(4)
	v_mul_f32_e32 v74, v144, v141
	v_mul_f32_e32 v124, v81, v141
	s_waitcnt lgkmcnt(3)
	v_mul_f32_e32 v75, v77, v143
	s_waitcnt vmcnt(13)
	v_mul_f32_e32 v136, v145, v21
	v_fmac_f32_e32 v125, v77, v142
	ds_read2_b32 v[76:77], v95 offset0:56 offset1:146
	v_fma_f32 v123, v81, v140, -v74
	v_fmac_f32_e32 v124, v144, v140
	v_fma_f32 v126, v79, v142, -v75
	v_mul_f32_e32 v81, v82, v21
	v_mul_f32_e32 v140, v78, v23
	v_fma_f32 v79, v82, v20, -v136
	ds_read2_b32 v[74:75], v101 offset0:132 offset1:222
	v_mul_f32_e32 v82, v80, v23
	v_fmac_f32_e32 v81, v145, v20
	ds_read2_b32 v[20:21], v97 offset0:108 offset1:198
	v_fma_f32 v80, v80, v22, -v140
	s_waitcnt vmcnt(12) lgkmcnt(3)
	v_mul_f32_e32 v142, v139, v17
	v_fmac_f32_e32 v82, v78, v22
	ds_read2_b32 v[22:23], v107 offset0:84 offset1:174
	v_mul_f32_e32 v140, v131, v17
	v_mul_f32_e32 v17, v138, v19
	;; [unrolled: 1-line block ×3, first 2 shown]
	v_fma_f32 v78, v131, v16, -v142
	ds_read2_b32 v[142:143], v108 offset0:160 offset1:250
	v_fmac_f32_e32 v140, v139, v16
	s_waitcnt vmcnt(11)
	v_mul_f32_e32 v19, v137, v13
	v_fma_f32 v16, v130, v18, -v17
	v_fmac_f32_e32 v141, v138, v18
	ds_read2_b32 v[17:18], v98 offset0:8 offset1:98
	v_mul_f32_e32 v131, v129, v13
	s_waitcnt lgkmcnt(5)
	v_mul_f32_e32 v13, v76, v15
	v_mul_f32_e32 v130, v66, v15
	v_fma_f32 v15, v129, v12, -v19
	s_waitcnt vmcnt(10)
	v_mul_f32_e32 v19, v77, v11
	v_fmac_f32_e32 v131, v137, v12
	v_fma_f32 v12, v66, v14, -v13
	v_fmac_f32_e32 v130, v76, v14
	v_mul_f32_e32 v66, v67, v11
	s_waitcnt lgkmcnt(4)
	v_mul_f32_e32 v11, v74, v9
	v_fma_f32 v76, v67, v10, -v19
	v_mul_f32_e32 v19, v64, v9
	ds_read2_b32 v[138:139], v99 offset0:112 offset1:202
	s_waitcnt vmcnt(9)
	v_mul_f32_e32 v9, v75, v1
	v_fmac_f32_e32 v66, v77, v10
	v_mul_f32_e32 v77, v65, v1
	s_waitcnt lgkmcnt(4)
	v_mul_f32_e32 v10, v20, v3
	v_fma_f32 v11, v64, v8, -v11
	v_fmac_f32_e32 v19, v74, v8
	v_mul_f32_e32 v64, v62, v3
	s_waitcnt vmcnt(8)
	v_mul_f32_e32 v3, v21, v5
	v_mul_f32_e32 v1, v63, v5
	s_waitcnt lgkmcnt(3)
	v_mul_f32_e32 v8, v22, v7
	v_mul_f32_e32 v5, v58, v7
	s_waitcnt vmcnt(7)
	v_mul_f32_e32 v7, v23, v27
	ds_read2_b32 v[13:14], v106 offset0:60 offset1:150
	v_fma_f32 v129, v65, v0, -v9
	v_fmac_f32_e32 v77, v75, v0
	s_waitcnt lgkmcnt(3)
	v_mul_f32_e32 v9, v142, v25
	v_fma_f32 v62, v62, v2, -v10
	s_waitcnt vmcnt(6) lgkmcnt(2)
	v_mul_f32_e32 v10, v17, v31
	v_fma_f32 v0, v58, v6, -v8
	v_fma_f32 v58, v59, v26, -v7
	ds_read2_b32 v[7:8], v100 offset0:36 offset1:126
	v_fmac_f32_e32 v64, v20, v2
	v_mul_f32_e32 v2, v143, v29
	v_mul_f32_e32 v65, v61, v29
	;; [unrolled: 1-line block ×3, first 2 shown]
	v_fmac_f32_e32 v1, v21, v4
	v_fma_f32 v21, v60, v24, -v9
	v_fma_f32 v31, v56, v30, -v10
	ds_read2_b32 v[9:10], v109 offset0:88 offset1:178
	v_fma_f32 v20, v63, v4, -v3
	s_waitcnt vmcnt(5)
	v_mul_f32_e32 v3, v18, v33
	v_fmac_f32_e32 v5, v22, v6
	v_fma_f32 v22, v61, v28, -v2
	v_fmac_f32_e32 v29, v17, v30
	v_mul_f32_e32 v2, v57, v33
	v_fma_f32 v17, v57, v32, -v3
	s_waitcnt lgkmcnt(3)
	v_mul_f32_e32 v3, v138, v35
	s_waitcnt vmcnt(4)
	v_mul_f32_e32 v6, v139, v39
	s_waitcnt vmcnt(3)
	v_mul_f32_e32 v30, v53, v41
	v_mul_f32_e32 v67, v59, v27
	;; [unrolled: 1-line block ×3, first 2 shown]
	v_fmac_f32_e32 v65, v143, v28
	v_mul_f32_e32 v4, v54, v35
	v_fmac_f32_e32 v2, v18, v32
	v_fma_f32 v3, v54, v34, -v3
	v_fma_f32 v54, v55, v38, -v6
	s_waitcnt lgkmcnt(2)
	v_mul_f32_e32 v6, v13, v37
	v_mul_f32_e32 v18, v14, v41
	v_fmac_f32_e32 v30, v14, v40
	v_mul_f32_e32 v28, v48, v43
	s_waitcnt vmcnt(2) lgkmcnt(1)
	v_mul_f32_e32 v14, v8, v71
	s_waitcnt vmcnt(0)
	v_mul_f32_e32 v32, v51, v73
	v_fmac_f32_e32 v67, v23, v26
	v_fmac_f32_e32 v74, v142, v24
	v_mul_f32_e32 v35, v55, v39
	v_mul_f32_e32 v39, v52, v37
	v_fma_f32 v23, v52, v36, -v6
	v_mul_f32_e32 v6, v7, v43
	v_fmac_f32_e32 v28, v7, v42
	v_fma_f32 v7, v49, v70, -v14
	s_waitcnt lgkmcnt(0)
	v_mul_f32_e32 v14, v10, v73
	v_fmac_f32_e32 v32, v10, v72
	v_mov_b32_e32 v10, 0x78
	v_mov_b32_e32 v24, 2
	v_fmac_f32_e32 v39, v13, v36
	v_fma_f32 v13, v53, v40, -v18
	v_add_f32_e32 v40, v78, v15
	v_mul_u32_u24_sdwa v27, v134, v10 dst_sel:DWORD dst_unused:UNUSED_PAD src0_sel:WORD_0 src1_sel:DWORD
	v_lshlrev_b32_sdwa v36, v24, v135 dst_sel:DWORD dst_unused:UNUSED_PAD src0_sel:DWORD src1_sel:BYTE_0
	v_fmac_f32_e32 v4, v138, v34
	v_fmac_f32_e32 v35, v139, v38
	v_fma_f32 v33, v48, v42, -v6
	v_mul_f32_e32 v6, v49, v71
	v_mul_f32_e32 v18, v9, v69
	;; [unrolled: 1-line block ×3, first 2 shown]
	v_add_f32_e32 v38, v12, v0
	v_add3_u32 v42, 0, v27, v36
	v_add_f32_e32 v36, v40, v20
	v_add_f32_e32 v41, v16, v3
	v_fmac_f32_e32 v6, v8, v70
	v_fma_f32 v8, v50, v68, -v18
	v_fmac_f32_e32 v34, v9, v68
	v_sub_f32_e32 v9, v16, v12
	v_sub_f32_e32 v18, v3, v0
	;; [unrolled: 1-line block ×4, first 2 shown]
	v_add_f32_e32 v37, v122, v16
	v_fma_f32 v27, -0.5, v38, v122
	v_add_f32_e32 v38, v20, v17
	v_add_f32_e32 v40, v1, v2
	;; [unrolled: 1-line block ×3, first 2 shown]
	v_fmac_f32_e32 v122, -0.5, v41
	v_sub_f32_e32 v41, v15, v7
	v_sub_f32_e32 v52, v20, v17
	;; [unrolled: 1-line block ×3, first 2 shown]
	v_add_f32_e32 v15, v15, v7
	v_add_f32_e32 v9, v9, v18
	;; [unrolled: 1-line block ×3, first 2 shown]
	v_sub_f32_e32 v25, v131, v1
	v_sub_f32_e32 v26, v6, v2
	;; [unrolled: 1-line block ×3, first 2 shown]
	v_fma_f32 v43, -0.5, v38, v78
	v_fma_f32 v48, -0.5, v40, v140
	v_sub_f32_e32 v38, v12, v16
	v_sub_f32_e32 v40, v0, v3
	v_add_f32_e32 v36, v36, v7
	v_sub_f32_e32 v7, v17, v7
	v_fmac_f32_e32 v78, -0.5, v15
	v_add_f32_e32 v15, v131, v6
	v_add_f32_e32 v25, v25, v26
	;; [unrolled: 1-line block ×3, first 2 shown]
	v_sub_f32_e32 v37, v141, v4
	v_add_f32_e32 v38, v38, v40
	v_fmamk_f32 v40, v49, 0xbf737871, v122
	v_fmac_f32_e32 v122, 0x3f737871, v49
	v_sub_f32_e32 v55, v1, v2
	v_add_f32_e32 v7, v20, v7
	v_add_f32_e32 v17, v140, v131
	v_fmac_f32_e32 v140, -0.5, v15
	v_sub_f32_e32 v15, v1, v131
	v_sub_f32_e32 v20, v2, v6
	;; [unrolled: 1-line block ×3, first 2 shown]
	v_fmac_f32_e32 v40, 0x3f167918, v37
	v_fmac_f32_e32 v122, 0xbf167918, v37
	v_fmamk_f32 v50, v55, 0xbf737871, v78
	v_fmac_f32_e32 v78, 0x3f737871, v55
	v_add_f32_e32 v15, v15, v20
	v_fmamk_f32 v20, v41, 0xbf737871, v48
	v_fma_f32 v14, v51, v72, -v14
	v_fmac_f32_e32 v40, 0x3e9e377a, v38
	v_fmac_f32_e32 v122, 0x3e9e377a, v38
	v_fmac_f32_e32 v50, 0x3f167918, v53
	v_fmac_f32_e32 v78, 0xbf167918, v53
	v_fmamk_f32 v51, v52, 0x3f737871, v140
	v_fmac_f32_e32 v140, 0xbf737871, v52
	v_fmamk_f32 v38, v53, 0x3f737871, v43
	v_fmac_f32_e32 v20, 0xbf167918, v52
	v_fmac_f32_e32 v43, 0xbf737871, v53
	;; [unrolled: 1-line block ×6, first 2 shown]
	v_fmamk_f32 v7, v37, 0x3f737871, v27
	v_fmac_f32_e32 v38, 0x3f167918, v55
	v_fmac_f32_e32 v20, 0x3e9e377a, v25
	;; [unrolled: 1-line block ×7, first 2 shown]
	v_add_f32_e32 v15, v26, v0
	v_fmac_f32_e32 v7, 0x3f167918, v49
	v_fmac_f32_e32 v38, 0x3e9e377a, v18
	v_mul_f32_e32 v26, 0x3f167918, v20
	v_fmac_f32_e32 v27, 0xbf167918, v49
	v_fmac_f32_e32 v48, 0x3f167918, v52
	v_fmac_f32_e32 v43, 0x3e9e377a, v18
	v_add_f32_e32 v15, v15, v3
	v_fmac_f32_e32 v7, 0x3e9e377a, v9
	v_fmac_f32_e32 v26, 0x3f4f1bbd, v38
	v_mul_f32_e32 v18, 0x3f737871, v51
	v_mul_f32_e32 v49, 0x3e9e377a, v78
	v_fmac_f32_e32 v27, 0x3e9e377a, v9
	v_fmac_f32_e32 v48, 0x3e9e377a, v25
	v_mul_f32_e32 v9, 0x3f4f1bbd, v43
	v_add_f32_e32 v37, v15, v36
	v_add_f32_e32 v25, v7, v26
	v_fmac_f32_e32 v18, 0x3e9e377a, v50
	v_fma_f32 v49, 0x3f737871, v140, -v49
	v_fma_f32 v9, 0x3f167918, v48, -v9
	ds_read_b32 v136, v102
	ds_read_b32 v41, v96
	;; [unrolled: 1-line block ×3, first 2 shown]
	s_waitcnt lgkmcnt(0)
	s_barrier
	buffer_gl0_inv
	ds_write2_b32 v42, v37, v25 offset1:3
	v_add_f32_e32 v25, v40, v18
	v_add_f32_e32 v37, v122, v49
	v_sub_f32_e32 v15, v15, v36
	v_add_f32_e32 v36, v27, v9
	v_sub_f32_e32 v7, v7, v26
	v_sub_f32_e32 v18, v40, v18
	;; [unrolled: 1-line block ×4, first 2 shown]
	ds_write2_b32 v42, v25, v37 offset0:6 offset1:9
	ds_write2_b32 v42, v36, v15 offset0:12 offset1:15
	;; [unrolled: 1-line block ×4, first 2 shown]
	v_sub_f32_e32 v9, v11, v21
	v_sub_f32_e32 v15, v8, v23
	v_mul_u32_u24_sdwa v10, v132, v10 dst_sel:DWORD dst_unused:UNUSED_PAD src0_sel:WORD_0 src1_sel:DWORD
	v_lshlrev_b32_sdwa v26, v24, v133 dst_sel:DWORD dst_unused:UNUSED_PAD src0_sel:DWORD src1_sel:BYTE_0
	v_sub_f32_e32 v18, v19, v74
	v_sub_f32_e32 v25, v34, v39
	v_add_f32_e32 v9, v9, v15
	v_add_f32_e32 v15, v123, v11
	v_add3_u32 v49, 0, v10, v26
	v_add_f32_e32 v26, v21, v23
	v_add_f32_e32 v18, v18, v25
	;; [unrolled: 1-line block ×4, first 2 shown]
	v_sub_f32_e32 v27, v126, v76
	v_fma_f32 v52, -0.5, v26, v123
	v_add_f32_e32 v26, v126, v54
	v_sub_f32_e32 v40, v54, v58
	v_add_f32_e32 v15, v15, v23
	v_add_f32_e32 v10, v121, v126
	v_fma_f32 v25, -0.5, v25, v121
	v_sub_f32_e32 v55, v11, v8
	v_add_f32_e32 v56, v11, v8
	v_fmac_f32_e32 v121, -0.5, v26
	v_sub_f32_e32 v26, v21, v23
	v_add_f32_e32 v15, v15, v8
	v_sub_f32_e32 v8, v23, v8
	v_add_f32_e32 v23, v74, v39
	v_add_f32_e32 v7, v27, v40
	v_sub_f32_e32 v37, v76, v126
	v_sub_f32_e32 v40, v58, v54
	v_fmac_f32_e32 v123, -0.5, v56
	v_sub_f32_e32 v56, v74, v39
	v_add_f32_e32 v59, v19, v34
	v_fma_f32 v60, -0.5, v23, v124
	v_add_f32_e32 v37, v37, v40
	v_sub_f32_e32 v40, v19, v34
	v_sub_f32_e32 v11, v21, v11
	v_fmamk_f32 v57, v56, 0xbf737871, v123
	v_fmac_f32_e32 v123, 0x3f737871, v56
	v_add_f32_e32 v61, v124, v19
	v_fmac_f32_e32 v124, -0.5, v59
	v_fmamk_f32 v63, v55, 0xbf737871, v60
	v_sub_f32_e32 v27, v125, v35
	v_add_f32_e32 v8, v11, v8
	v_fmac_f32_e32 v57, 0x3f167918, v40
	v_sub_f32_e32 v11, v74, v19
	v_sub_f32_e32 v19, v39, v34
	v_fmamk_f32 v59, v26, 0x3f737871, v124
	v_fmac_f32_e32 v123, 0xbf167918, v40
	v_fmac_f32_e32 v124, 0xbf737871, v26
	v_fmamk_f32 v68, v40, 0x3f737871, v52
	v_fmac_f32_e32 v63, 0xbf167918, v26
	v_fmac_f32_e32 v52, 0xbf737871, v40
	v_sub_f32_e32 v36, v66, v67
	v_add_f32_e32 v11, v11, v19
	v_fmac_f32_e32 v59, 0xbf167918, v55
	v_fmac_f32_e32 v57, 0x3e9e377a, v8
	;; [unrolled: 1-line block ×4, first 2 shown]
	v_add_f32_e32 v8, v10, v76
	v_fmamk_f32 v10, v27, 0x3f737871, v25
	v_fmac_f32_e32 v68, 0x3f167918, v56
	v_fmac_f32_e32 v63, 0x3e9e377a, v18
	;; [unrolled: 1-line block ×4, first 2 shown]
	v_fmamk_f32 v21, v36, 0xbf737871, v121
	v_fmac_f32_e32 v121, 0x3f737871, v36
	v_fmac_f32_e32 v59, 0x3e9e377a, v11
	;; [unrolled: 1-line block ×3, first 2 shown]
	v_add_f32_e32 v8, v8, v58
	v_fmac_f32_e32 v10, 0x3f167918, v36
	v_fmac_f32_e32 v68, 0x3e9e377a, v9
	v_mul_f32_e32 v11, 0x3f167918, v63
	v_fmac_f32_e32 v25, 0xbf737871, v27
	v_fmac_f32_e32 v60, 0x3f167918, v26
	;; [unrolled: 1-line block ×5, first 2 shown]
	v_add_f32_e32 v8, v8, v54
	v_fmac_f32_e32 v10, 0x3e9e377a, v7
	v_fmac_f32_e32 v11, 0x3f4f1bbd, v68
	v_mul_f32_e32 v9, 0x3f737871, v59
	v_mul_f32_e32 v23, 0x3e9e377a, v123
	v_fmac_f32_e32 v25, 0xbf167918, v36
	v_fmac_f32_e32 v60, 0x3e9e377a, v18
	v_mul_f32_e32 v18, 0x3f4f1bbd, v52
	v_fmac_f32_e32 v21, 0x3e9e377a, v37
	v_fmac_f32_e32 v121, 0x3e9e377a, v37
	v_add_f32_e32 v19, v8, v15
	v_add_f32_e32 v26, v10, v11
	v_fmac_f32_e32 v9, 0x3e9e377a, v57
	v_fma_f32 v23, 0x3f737871, v124, -v23
	v_fmac_f32_e32 v25, 0x3e9e377a, v7
	v_fma_f32 v7, 0x3f167918, v60, -v18
	ds_write2_b32 v49, v19, v26 offset1:3
	v_add_f32_e32 v18, v21, v9
	v_add_f32_e32 v19, v121, v23
	v_sub_f32_e32 v8, v8, v15
	v_add_f32_e32 v15, v25, v7
	v_sub_f32_e32 v10, v10, v11
	v_sub_f32_e32 v9, v21, v9
	;; [unrolled: 1-line block ×5, first 2 shown]
	ds_write2_b32 v49, v18, v19 offset0:6 offset1:9
	ds_write2_b32 v49, v15, v8 offset0:12 offset1:15
	;; [unrolled: 1-line block ×3, first 2 shown]
	v_sub_f32_e32 v9, v129, v22
	v_sub_f32_e32 v10, v14, v13
	v_mul_u32_u24_e32 v19, 0x78, v127
	v_add_f32_e32 v8, v21, v23
	v_lshlrev_b32_sdwa v21, v24, v128 dst_sel:DWORD dst_unused:UNUSED_PAD src0_sel:DWORD src1_sel:WORD_0
	v_sub_f32_e32 v15, v77, v65
	v_add_f32_e32 v9, v9, v10
	v_add_f32_e32 v10, v79, v129
	v_sub_f32_e32 v18, v32, v30
	v_add3_u32 v40, 0, v19, v21
	v_add_f32_e32 v21, v22, v13
	v_add_f32_e32 v19, v120, v80
	;; [unrolled: 1-line block ×5, first 2 shown]
	v_fma_f32 v55, -0.5, v21, v79
	v_add_f32_e32 v21, v80, v33
	v_add_f32_e32 v10, v10, v13
	v_sub_f32_e32 v36, v129, v14
	v_fma_f32 v18, -0.5, v18, v120
	v_add_f32_e32 v37, v129, v14
	v_fmac_f32_e32 v120, -0.5, v21
	v_sub_f32_e32 v21, v22, v13
	v_add_f32_e32 v10, v10, v14
	v_sub_f32_e32 v13, v13, v14
	v_add_f32_e32 v14, v65, v30
	v_add_f32_e32 v70, v77, v32
	v_sub_f32_e32 v26, v62, v80
	v_sub_f32_e32 v27, v31, v33
	v_fmac_f32_e32 v79, -0.5, v37
	v_sub_f32_e32 v22, v22, v129
	v_sub_f32_e32 v56, v65, v30
	v_fma_f32 v71, -0.5, v14, v81
	v_add_f32_e32 v72, v81, v77
	v_fmac_f32_e32 v81, -0.5, v70
	v_add_f32_e32 v26, v26, v27
	v_sub_f32_e32 v27, v77, v32
	v_fmamk_f32 v69, v56, 0xbf737871, v79
	v_fmac_f32_e32 v79, 0x3f737871, v56
	v_add_f32_e32 v13, v22, v13
	v_sub_f32_e32 v14, v65, v77
	v_sub_f32_e32 v22, v30, v32
	v_fmamk_f32 v70, v21, 0x3f737871, v81
	v_fmac_f32_e32 v81, 0xbf737871, v21
	v_fmamk_f32 v73, v36, 0xbf737871, v71
	v_fmamk_f32 v75, v27, 0x3f737871, v55
	v_fmac_f32_e32 v55, 0xbf737871, v27
	v_sub_f32_e32 v23, v82, v28
	v_fmac_f32_e32 v69, 0x3f167918, v27
	v_fmac_f32_e32 v79, 0xbf167918, v27
	v_add_f32_e32 v14, v14, v22
	v_fmac_f32_e32 v70, 0xbf167918, v36
	v_fmac_f32_e32 v81, 0x3f167918, v36
	;; [unrolled: 1-line block ×3, first 2 shown]
	v_sub_f32_e32 v7, v25, v7
	v_sub_f32_e32 v25, v64, v29
	v_fmac_f32_e32 v71, 0x3f737871, v36
	v_fmac_f32_e32 v55, 0xbf167918, v56
	;; [unrolled: 1-line block ×6, first 2 shown]
	v_add_f32_e32 v13, v19, v62
	v_fmamk_f32 v14, v23, 0x3f737871, v18
	v_fmac_f32_e32 v75, 0x3f167918, v56
	v_fmac_f32_e32 v73, 0x3e9e377a, v15
	v_fmamk_f32 v37, v25, 0xbf737871, v120
	v_fmac_f32_e32 v120, 0x3f737871, v25
	v_fmac_f32_e32 v18, 0xbf737871, v23
	;; [unrolled: 1-line block ×4, first 2 shown]
	v_add_f32_e32 v13, v13, v31
	v_fmac_f32_e32 v14, 0x3f167918, v25
	v_fmac_f32_e32 v75, 0x3e9e377a, v9
	v_mul_f32_e32 v19, 0x3f167918, v73
	v_fmac_f32_e32 v37, 0x3f167918, v23
	v_fmac_f32_e32 v120, 0xbf167918, v23
	v_mul_f32_e32 v9, 0x3f737871, v70
	v_mul_f32_e32 v21, 0x3e9e377a, v79
	v_fmac_f32_e32 v18, 0xbf167918, v25
	v_fmac_f32_e32 v71, 0x3e9e377a, v15
	v_mul_f32_e32 v15, 0x3f4f1bbd, v55
	v_add_f32_e32 v13, v13, v33
	v_fmac_f32_e32 v14, 0x3e9e377a, v8
	v_fmac_f32_e32 v19, 0x3f4f1bbd, v75
	;; [unrolled: 1-line block ×5, first 2 shown]
	v_fma_f32 v21, 0x3f737871, v81, -v21
	v_fmac_f32_e32 v18, 0x3e9e377a, v8
	v_fma_f32 v8, 0x3f167918, v71, -v15
	v_add_f32_e32 v22, v13, v10
	v_add_f32_e32 v23, v14, v19
	;; [unrolled: 1-line block ×3, first 2 shown]
	v_sub_f32_e32 v10, v13, v10
	v_add_f32_e32 v13, v120, v21
	v_sub_f32_e32 v14, v14, v19
	v_add_f32_e32 v19, v18, v8
	v_sub_f32_e32 v9, v37, v9
	ds_write2_b32 v49, v11, v7 offset0:24 offset1:27
	ds_write2_b32 v40, v22, v23 offset1:3
	ds_write2_b32 v40, v15, v13 offset0:6 offset1:9
	ds_write2_b32 v40, v19, v10 offset0:12 offset1:15
	;; [unrolled: 1-line block ×3, first 2 shown]
	v_sub_f32_e32 v7, v120, v21
	v_sub_f32_e32 v8, v18, v8
	v_add_f32_e32 v9, v130, v5
	v_sub_f32_e32 v56, v16, v3
	v_add_f32_e32 v3, v53, v141
	v_sub_f32_e32 v120, v12, v0
	ds_write2_b32 v40, v7, v8 offset0:24 offset1:27
	v_add_f32_e32 v8, v141, v4
	v_fma_f32 v77, -0.5, v9, v53
	v_add_f32_e32 v1, v17, v1
	v_sub_f32_e32 v9, v141, v130
	v_sub_f32_e32 v10, v4, v5
	v_fmac_f32_e32 v53, -0.5, v8
	v_add_f32_e32 v0, v3, v130
	v_fmamk_f32 v121, v56, 0xbf737871, v77
	v_sub_f32_e32 v130, v130, v141
	v_sub_f32_e32 v131, v5, v4
	v_fmamk_f32 v132, v120, 0x3f737871, v53
	v_fmac_f32_e32 v53, 0xbf737871, v120
	v_fmac_f32_e32 v77, 0x3f737871, v56
	v_add_f32_e32 v1, v1, v2
	v_add_f32_e32 v122, v9, v10
	v_mul_f32_e32 v127, 0xbf167918, v38
	v_add_f32_e32 v0, v0, v5
	v_fmac_f32_e32 v121, 0xbf167918, v120
	v_add_f32_e32 v130, v130, v131
	v_fmac_f32_e32 v132, 0xbf167918, v56
	v_fmac_f32_e32 v53, 0x3f167918, v56
	v_mul_f32_e32 v50, 0xbf737871, v50
	v_mul_f32_e32 v56, 0x3e9e377a, v140
	v_fmac_f32_e32 v77, 0x3f167918, v120
	v_mul_f32_e32 v48, 0x3f4f1bbd, v48
	v_add_f32_e32 v128, v1, v6
	v_fmac_f32_e32 v127, 0x3f4f1bbd, v20
	v_add_f32_e32 v129, v0, v4
	v_fmac_f32_e32 v121, 0x3e9e377a, v122
	v_fmac_f32_e32 v132, 0x3e9e377a, v130
	;; [unrolled: 1-line block ×4, first 2 shown]
	v_fma_f32 v51, 0xbf737871, v78, -v56
	v_fmac_f32_e32 v77, 0x3e9e377a, v122
	v_fma_f32 v43, 0xbf167918, v43, -v48
	v_add_f32_e32 v131, v129, v128
	v_add_f32_e32 v48, v121, v127
	;; [unrolled: 1-line block ×4, first 2 shown]
	v_sub_f32_e32 v120, v129, v128
	v_add_f32_e32 v122, v77, v43
	v_sub_f32_e32 v121, v121, v127
	v_sub_f32_e32 v50, v132, v50
	;; [unrolled: 1-line block ×4, first 2 shown]
	s_waitcnt lgkmcnt(0)
	s_barrier
	buffer_gl0_inv
	ds_read_b32 v36, v113
	ds_read_b32 v27, v94
	;; [unrolled: 1-line block ×6, first 2 shown]
	ds_read2_b32 v[16:17], v95 offset0:56 offset1:146
	ds_read2_b32 v[12:13], v97 offset0:108 offset1:198
	ds_read2_b32 v[10:11], v107 offset0:84 offset1:174
	ds_read2_b32 v[6:7], v98 offset0:8 offset1:98
	ds_read2_b32 v[2:3], v99 offset0:112 offset1:202
	ds_read2_b32 v[0:1], v100 offset0:36 offset1:126
	ds_read2_b32 v[22:23], v115 offset0:104 offset1:194
	ds_read2_b32 v[20:21], v116 offset0:118 offset1:208
	ds_read2_b32 v[18:19], v101 offset0:132 offset1:222
	ds_read2_b32 v[14:15], v108 offset0:160 offset1:250
	ds_read2_b32 v[8:9], v106 offset0:60 offset1:150
	ds_read2_b32 v[4:5], v109 offset0:88 offset1:178
	s_waitcnt lgkmcnt(0)
	s_barrier
	buffer_gl0_inv
	ds_write2_b32 v42, v131, v48 offset1:3
	ds_write2_b32 v42, v56, v78 offset0:6 offset1:9
	ds_write2_b32 v42, v122, v120 offset0:12 offset1:15
	;; [unrolled: 1-line block ×4, first 2 shown]
	v_add_f32_e32 v42, v61, v74
	v_sub_f32_e32 v48, v125, v66
	v_sub_f32_e32 v50, v35, v67
	;; [unrolled: 1-line block ×3, first 2 shown]
	v_add_f32_e32 v51, v41, v125
	v_add_f32_e32 v54, v66, v67
	;; [unrolled: 1-line block ×6, first 2 shown]
	v_fma_f32 v51, -0.5, v54, v41
	v_sub_f32_e32 v53, v76, v58
	v_sub_f32_e32 v54, v66, v125
	v_fmac_f32_e32 v41, -0.5, v50
	v_add_f32_e32 v48, v48, v67
	v_fmamk_f32 v50, v43, 0xbf737871, v51
	v_sub_f32_e32 v56, v67, v35
	v_fmac_f32_e32 v51, 0x3f737871, v43
	v_fmamk_f32 v58, v53, 0x3f737871, v41
	v_fmac_f32_e32 v41, 0xbf737871, v53
	v_add_f32_e32 v34, v39, v34
	v_mul_f32_e32 v39, 0xbf167918, v68
	v_fmac_f32_e32 v50, 0xbf167918, v53
	v_add_f32_e32 v35, v48, v35
	v_add_f32_e32 v48, v54, v56
	v_fmac_f32_e32 v58, 0xbf167918, v43
	v_fmac_f32_e32 v41, 0x3f167918, v43
	v_mul_f32_e32 v43, 0xbf737871, v57
	v_mul_f32_e32 v56, 0x3e9e377a, v124
	v_fmac_f32_e32 v51, 0x3f167918, v53
	v_mul_f32_e32 v53, 0x3f4f1bbd, v60
	v_fmac_f32_e32 v39, 0x3f4f1bbd, v63
	v_fmac_f32_e32 v50, 0x3e9e377a, v42
	;; [unrolled: 1-line block ×5, first 2 shown]
	v_fma_f32 v48, 0xbf737871, v123, -v56
	v_fmac_f32_e32 v51, 0x3e9e377a, v42
	v_fma_f32 v42, 0xbf167918, v52, -v53
	v_add_f32_e32 v54, v35, v34
	v_add_f32_e32 v52, v50, v39
	;; [unrolled: 1-line block ×4, first 2 shown]
	v_sub_f32_e32 v34, v35, v34
	v_add_f32_e32 v35, v51, v42
	v_sub_f32_e32 v39, v50, v39
	v_sub_f32_e32 v43, v58, v43
	;; [unrolled: 1-line block ×4, first 2 shown]
	ds_write2_b32 v49, v54, v52 offset1:3
	ds_write2_b32 v49, v53, v56 offset0:6 offset1:9
	ds_write2_b32 v49, v35, v34 offset0:12 offset1:15
	;; [unrolled: 1-line block ×4, first 2 shown]
	v_add_f32_e32 v34, v72, v65
	v_add_f32_e32 v39, v64, v29
	;; [unrolled: 1-line block ×3, first 2 shown]
	v_sub_f32_e32 v31, v62, v31
	v_sub_f32_e32 v33, v80, v33
	v_add_f32_e32 v30, v34, v30
	v_add_f32_e32 v34, v136, v82
	v_fma_f32 v39, -0.5, v39, v136
	v_fmac_f32_e32 v136, -0.5, v42
	v_sub_f32_e32 v41, v28, v29
	v_add_f32_e32 v30, v30, v32
	v_add_f32_e32 v34, v34, v64
	v_sub_f32_e32 v35, v82, v64
	v_fmamk_f32 v42, v31, 0x3f737871, v136
	v_fmac_f32_e32 v136, 0xbf737871, v31
	v_fmamk_f32 v43, v33, 0xbf737871, v39
	v_add_f32_e32 v32, v34, v29
	v_sub_f32_e32 v34, v64, v82
	v_sub_f32_e32 v29, v29, v28
	v_fmac_f32_e32 v39, 0x3f737871, v33
	v_fmac_f32_e32 v42, 0xbf167918, v33
	;; [unrolled: 1-line block ×3, first 2 shown]
	v_add_f32_e32 v35, v35, v41
	v_add_f32_e32 v29, v34, v29
	v_mul_f32_e32 v41, 0xbf167918, v75
	v_fmac_f32_e32 v43, 0xbf167918, v31
	v_add_f32_e32 v28, v32, v28
	v_mul_lo_u16 v33, 0x89, v118
	v_fmac_f32_e32 v39, 0x3f167918, v31
	v_mul_f32_e32 v31, 0x3f4f1bbd, v71
	v_mul_f32_e32 v48, 0xbf737871, v69
	v_fmac_f32_e32 v42, 0x3e9e377a, v29
	v_fmac_f32_e32 v136, 0x3e9e377a, v29
	v_mul_f32_e32 v29, 0x3e9e377a, v81
	v_fmac_f32_e32 v41, 0x3f4f1bbd, v73
	v_fmac_f32_e32 v43, 0x3e9e377a, v35
	v_add_f32_e32 v32, v28, v30
	v_lshrrev_b16 v64, 12, v33
	v_fmac_f32_e32 v39, 0x3e9e377a, v35
	v_fma_f32 v31, 0xbf167918, v55, -v31
	v_sub_f32_e32 v28, v28, v30
	v_mov_b32_e32 v30, 0x8889
	v_fmac_f32_e32 v48, 0x3e9e377a, v70
	v_fma_f32 v29, 0xbf737871, v79, -v29
	v_add_f32_e32 v34, v43, v41
	v_mul_lo_u16 v35, v64, 30
	v_add_f32_e32 v50, v39, v31
	v_mul_u32_u24_sdwa v30, v111, v30 dst_sel:DWORD dst_unused:UNUSED_PAD src0_sel:WORD_0 src1_sel:DWORD
	v_add_f32_e32 v49, v42, v48
	v_add_f32_e32 v33, v136, v29
	ds_write2_b32 v40, v32, v34 offset1:3
	ds_write2_b32 v40, v49, v33 offset0:6 offset1:9
	v_sub_nc_u16 v66, v110, v35
	ds_write2_b32 v40, v50, v28 offset0:12 offset1:15
	v_sub_f32_e32 v28, v43, v41
	v_sub_f32_e32 v32, v42, v48
	v_lshrrev_b32_e32 v52, 20, v30
	v_mul_u32_u24_sdwa v30, v66, v117 dst_sel:DWORD dst_unused:UNUSED_PAD src0_sel:BYTE_0 src1_sel:DWORD
	v_sub_f32_e32 v29, v136, v29
	v_sub_f32_e32 v31, v39, v31
	ds_write2_b32 v40, v28, v32 offset0:18 offset1:21
	v_mul_lo_u16 v28, v52, 30
	v_mul_lo_u16 v32, 0x89, v119
	v_lshlrev_b32_e32 v33, 3, v30
	ds_write2_b32 v40, v29, v31 offset0:24 offset1:27
	s_waitcnt lgkmcnt(0)
	v_sub_nc_u16 v57, v111, v28
	v_lshrrev_b16 v67, 12, v32
	s_barrier
	buffer_gl0_inv
	global_load_dwordx4 v[28:31], v33, s[12:13] offset:216
	v_mul_u32_u24_sdwa v32, v57, v117 dst_sel:DWORD dst_unused:UNUSED_PAD src0_sel:WORD_0 src1_sel:DWORD
	v_mul_lo_u16 v34, v67, 30
	v_lshlrev_b32_sdwa v66, v24, v66 dst_sel:DWORD dst_unused:UNUSED_PAD src0_sel:DWORD src1_sel:BYTE_0
	v_lshlrev_b32_e32 v32, 3, v32
	v_sub_nc_u16 v68, v83, v34
	global_load_dwordx4 v[40:43], v32, s[12:13] offset:216
	v_mul_u32_u24_sdwa v34, v68, v117 dst_sel:DWORD dst_unused:UNUSED_PAD src0_sel:BYTE_0 src1_sel:DWORD
	v_lshlrev_b32_sdwa v68, v24, v68 dst_sel:DWORD dst_unused:UNUSED_PAD src0_sel:DWORD src1_sel:BYTE_0
	v_lshlrev_b32_e32 v34, 3, v34
	s_clause 0xc
	global_load_dwordx4 v[48:51], v34, s[12:13] offset:216
	global_load_dwordx4 v[60:63], v34, s[12:13] offset:232
	;; [unrolled: 1-line block ×10, first 2 shown]
	global_load_dwordx2 v[137:138], v34, s[12:13] offset:280
	global_load_dwordx2 v[139:140], v33, s[12:13] offset:280
	;; [unrolled: 1-line block ×3, first 2 shown]
	ds_read2_b32 v[53:54], v115 offset0:104 offset1:194
	ds_read2_b32 v[55:56], v116 offset0:118 offset1:208
	ds_read_b32 v58, v112
	ds_read_b32 v65, v114
	ds_read2_b32 v[115:116], v95 offset0:56 offset1:146
	ds_read2_b32 v[143:144], v107 offset0:84 offset1:174
	s_waitcnt vmcnt(14) lgkmcnt(5)
	v_mul_f32_e32 v32, v53, v29
	v_mul_f32_e32 v34, v22, v29
	s_waitcnt lgkmcnt(4)
	v_mul_f32_e32 v29, v55, v31
	v_mul_f32_e32 v35, v20, v31
	v_fma_f32 v33, v22, v28, -v32
	ds_read_b32 v22, v113
	v_fma_f32 v39, v20, v30, -v29
	v_fmac_f32_e32 v34, v53, v28
	v_fmac_f32_e32 v35, v55, v30
	s_waitcnt vmcnt(12)
	v_mul_f32_e32 v59, v37, v51
	v_mul_f32_e32 v20, v54, v41
	;; [unrolled: 1-line block ×5, first 2 shown]
	s_waitcnt lgkmcnt(3)
	v_fmac_f32_e32 v59, v65, v50
	v_fma_f32 v28, v23, v40, -v20
	v_fmac_f32_e32 v29, v54, v40
	ds_read2_b32 v[40:41], v101 offset0:132 offset1:222
	v_fma_f32 v32, v21, v42, -v31
	ds_read_b32 v31, v102
	v_mul_f32_e32 v20, v58, v49
	v_mul_f32_e32 v21, v65, v51
	v_fmac_f32_e32 v30, v56, v42
	s_waitcnt vmcnt(11)
	v_mul_f32_e32 v23, v36, v61
	ds_read2_b32 v[42:43], v97 offset0:108 offset1:198
	v_fma_f32 v53, v38, v48, -v20
	v_fma_f32 v20, v37, v50, -v21
	s_waitcnt lgkmcnt(3)
	v_mul_f32_e32 v21, v22, v61
	v_mul_f32_e32 v54, v38, v49
	v_fmac_f32_e32 v23, v22, v60
	v_mul_f32_e32 v37, v115, v63
	v_mul_f32_e32 v61, v16, v63
	v_fma_f32 v69, v36, v60, -v21
	s_waitcnt vmcnt(10)
	v_mul_f32_e32 v21, v116, v73
	v_fmac_f32_e32 v54, v58, v48
	v_mul_f32_e32 v48, v17, v73
	v_fma_f32 v16, v16, v62, -v37
	s_waitcnt lgkmcnt(2)
	v_mul_f32_e32 v22, v40, v71
	v_fma_f32 v51, v17, v72, -v21
	v_mul_f32_e32 v21, v18, v71
	v_fmac_f32_e32 v48, v116, v72
	ds_read2_b32 v[72:73], v98 offset0:8 offset1:98
	v_fma_f32 v22, v18, v70, -v22
	s_waitcnt vmcnt(9)
	v_mul_f32_e32 v17, v41, v75
	v_fmac_f32_e32 v21, v40, v70
	ds_read2_b32 v[70:71], v108 offset0:160 offset1:250
	s_waitcnt lgkmcnt(2)
	v_mul_f32_e32 v37, v42, v77
	v_mul_f32_e32 v18, v19, v75
	;; [unrolled: 1-line block ×3, first 2 shown]
	v_fma_f32 v19, v19, v74, -v17
	s_waitcnt vmcnt(7)
	v_mul_f32_e32 v50, v11, v120
	v_fma_f32 v38, v12, v76, -v37
	v_mul_f32_e32 v37, v144, v120
	v_fmac_f32_e32 v18, v41, v74
	v_fmac_f32_e32 v36, v42, v76
	v_mul_f32_e32 v12, v143, v81
	ds_read2_b32 v[74:75], v99 offset0:112 offset1:202
	v_fma_f32 v56, v11, v119, -v37
	v_mul_f32_e32 v58, v14, v118
	s_waitcnt vmcnt(6)
	v_mul_f32_e32 v42, v15, v122
	ds_read2_b32 v[76:77], v106 offset0:60 offset1:150
	v_mul_f32_e32 v63, v10, v81
	v_fma_f32 v10, v10, v80, -v12
	v_mul_f32_e32 v40, v43, v79
	s_waitcnt vmcnt(5)
	v_mul_f32_e32 v65, v2, v128
	s_waitcnt lgkmcnt(2)
	v_mul_f32_e32 v11, v70, v118
	v_mul_f32_e32 v37, v71, v122
	v_fmac_f32_e32 v58, v70, v117
	v_fmac_f32_e32 v42, v71, v121
	ds_read2_b32 v[70:71], v100 offset0:36 offset1:126
	v_fma_f32 v12, v14, v117, -v11
	v_mul_f32_e32 v14, v72, v124
	v_fma_f32 v11, v15, v121, -v37
	v_mul_f32_e32 v37, v6, v124
	v_mul_f32_e32 v15, v73, v126
	v_fmac_f32_e32 v61, v115, v62
	v_fma_f32 v41, v6, v123, -v14
	v_mul_f32_e32 v6, v7, v126
	v_fmac_f32_e32 v37, v72, v123
	v_fma_f32 v14, v7, v125, -v15
	s_waitcnt vmcnt(4) lgkmcnt(2)
	v_mul_f32_e32 v7, v75, v132
	s_waitcnt lgkmcnt(1)
	v_mul_f32_e32 v15, v76, v130
	v_fmac_f32_e32 v6, v73, v125
	ds_read2_b32 v[72:73], v109 offset0:88 offset1:178
	v_mul_f32_e32 v17, v13, v79
	v_fma_f32 v13, v13, v78, -v40
	v_mul_f32_e32 v40, v74, v128
	v_mul_f32_e32 v55, v3, v132
	;; [unrolled: 1-line block ×3, first 2 shown]
	v_fmac_f32_e32 v65, v74, v127
	v_fma_f32 v62, v3, v131, -v7
	v_fma_f32 v8, v8, v129, -v15
	s_waitcnt vmcnt(3)
	v_mul_f32_e32 v3, v77, v134
	s_waitcnt lgkmcnt(1)
	v_mul_f32_e32 v15, v70, v136
	s_waitcnt vmcnt(2)
	v_mul_f32_e32 v74, v71, v138
	v_fma_f32 v2, v2, v127, -v40
	v_mul_f32_e32 v40, v0, v136
	v_fma_f32 v7, v9, v133, -v3
	v_fma_f32 v49, v0, v135, -v15
	;; [unrolled: 1-line block ×3, first 2 shown]
	v_mul_f32_e32 v3, v1, v138
	s_waitcnt vmcnt(1)
	v_mul_f32_e32 v1, v4, v140
	v_fmac_f32_e32 v17, v43, v78
	v_mul_f32_e32 v43, v9, v134
	v_fmac_f32_e32 v40, v70, v135
	s_waitcnt lgkmcnt(0)
	v_mul_f32_e32 v9, v72, v140
	s_waitcnt vmcnt(0)
	v_mul_f32_e32 v70, v73, v142
	v_mul_f32_e32 v0, v5, v142
	v_fmac_f32_e32 v3, v71, v137
	v_fmac_f32_e32 v1, v72, v139
	v_mov_b32_e32 v72, 0x4b0
	v_fmac_f32_e32 v55, v75, v131
	v_fmac_f32_e32 v43, v77, v133
	v_fma_f32 v9, v4, v139, -v9
	v_fma_f32 v4, v5, v141, -v70
	v_fmac_f32_e32 v0, v73, v141
	v_sub_f32_e32 v5, v20, v16
	v_sub_f32_e32 v70, v2, v10
	;; [unrolled: 1-line block ×6, first 2 shown]
	v_mul_u32_u24_sdwa v67, v67, v72 dst_sel:DWORD dst_unused:UNUSED_PAD src0_sel:WORD_0 src1_sel:DWORD
	v_add_f32_e32 v77, v53, v69
	v_add_f32_e32 v5, v5, v70
	;; [unrolled: 1-line block ×5, first 2 shown]
	v_add3_u32 v74, 0, v67, v68
	v_add_f32_e32 v68, v13, v14
	v_add_f32_e32 v77, v77, v13
	;; [unrolled: 1-line block ×3, first 2 shown]
	v_fmac_f32_e32 v60, v76, v129
	v_fma_f32 v76, -0.5, v75, v54
	v_fma_f32 v75, -0.5, v68, v53
	v_sub_f32_e32 v117, v17, v6
	v_add_f32_e32 v77, v77, v14
	v_fmac_f32_e32 v53, -0.5, v78
	v_add_f32_e32 v73, v27, v20
	v_sub_f32_e32 v79, v69, v15
	v_sub_f32_e32 v68, v23, v3
	;; [unrolled: 1-line block ×3, first 2 shown]
	v_add_f32_e32 v122, v77, v15
	v_sub_f32_e32 v13, v13, v69
	v_sub_f32_e32 v14, v14, v15
	v_fmamk_f32 v78, v117, 0xbf737871, v53
	v_sub_f32_e32 v15, v16, v20
	v_fmac_f32_e32 v53, 0x3f737871, v117
	v_sub_f32_e32 v69, v10, v2
	v_add_f32_e32 v73, v73, v16
	v_add_f32_e32 v13, v13, v14
	v_fmac_f32_e32 v78, 0x3f167918, v68
	v_fmac_f32_e32 v53, 0xbf167918, v68
	v_add_f32_e32 v14, v15, v69
	v_add_f32_e32 v15, v23, v3
	;; [unrolled: 1-line block ×3, first 2 shown]
	v_fmamk_f32 v115, v79, 0xbf737871, v76
	v_add_f32_e32 v73, v73, v10
	v_fmac_f32_e32 v78, 0x3e9e377a, v13
	v_fmac_f32_e32 v53, 0x3e9e377a, v13
	v_add_f32_e32 v13, v54, v23
	v_fmac_f32_e32 v54, -0.5, v15
	v_fmac_f32_e32 v63, v143, v80
	v_fma_f32 v67, -0.5, v67, v27
	v_sub_f32_e32 v81, v59, v65
	v_fmamk_f32 v116, v68, 0x3f737871, v75
	v_fmac_f32_e32 v115, 0xbf167918, v82
	v_add_f32_e32 v121, v73, v2
	v_add_f32_e32 v73, v20, v2
	v_sub_f32_e32 v23, v17, v23
	v_sub_f32_e32 v69, v6, v3
	v_fmac_f32_e32 v75, 0xbf737871, v68
	v_fmamk_f32 v80, v82, 0x3f737871, v54
	v_fmac_f32_e32 v50, v144, v119
	v_fmamk_f32 v118, v81, 0x3f737871, v67
	v_sub_f32_e32 v119, v61, v63
	v_fmac_f32_e32 v116, 0x3f167918, v117
	v_fmac_f32_e32 v115, 0x3e9e377a, v71
	v_fmac_f32_e32 v27, -0.5, v73
	ds_read_b32 v73, v96
	v_add_f32_e32 v15, v23, v69
	v_fmac_f32_e32 v54, 0xbf737871, v82
	v_fmac_f32_e32 v80, 0xbf167918, v79
	;; [unrolled: 1-line block ×6, first 2 shown]
	v_mul_f32_e32 v120, 0x3f167918, v115
	v_fmamk_f32 v23, v119, 0xbf737871, v27
	v_fmac_f32_e32 v27, 0x3f737871, v119
	v_fmac_f32_e32 v54, 0x3f167918, v79
	;; [unrolled: 1-line block ×11, first 2 shown]
	v_mul_f32_e32 v15, 0x3f737871, v80
	v_mul_f32_e32 v70, 0x3e9e377a, v53
	v_fmac_f32_e32 v67, 0xbf167918, v119
	v_fmac_f32_e32 v76, 0x3e9e377a, v71
	v_mul_f32_e32 v71, 0x3f4f1bbd, v75
	v_add_f32_e32 v68, v121, v122
	v_add_f32_e32 v69, v118, v120
	v_fmac_f32_e32 v23, 0x3e9e377a, v14
	v_fmac_f32_e32 v27, 0x3e9e377a, v14
	;; [unrolled: 1-line block ×3, first 2 shown]
	v_fma_f32 v14, 0x3f737871, v54, -v70
	v_fmac_f32_e32 v67, 0x3e9e377a, v5
	v_fma_f32 v5, 0x3f167918, v76, -v71
	ds_read_b32 v77, v94
	s_waitcnt lgkmcnt(0)
	s_barrier
	buffer_gl0_inv
	ds_write2_b32 v74, v68, v69 offset1:30
	v_add_f32_e32 v68, v23, v15
	v_add_f32_e32 v69, v27, v14
	;; [unrolled: 1-line block ×3, first 2 shown]
	v_sub_f32_e32 v15, v23, v15
	v_sub_f32_e32 v5, v67, v5
	;; [unrolled: 1-line block ×7, first 2 shown]
	v_add_nc_u32_e32 v27, 0x200, v74
	ds_write2_b32 v74, v68, v69 offset0:60 offset1:90
	ds_write2_b32 v74, v71, v70 offset0:120 offset1:150
	;; [unrolled: 1-line block ×4, first 2 shown]
	v_add_f32_e32 v5, v23, v67
	v_sub_f32_e32 v23, v21, v58
	v_sub_f32_e32 v68, v1, v60
	v_add_f32_e32 v69, v33, v22
	v_add_f32_e32 v120, v22, v9
	v_sub_f32_e32 v119, v58, v60
	v_sub_f32_e32 v14, v22, v12
	v_add_f32_e32 v23, v23, v68
	v_add_f32_e32 v68, v12, v8
	v_add_f32_e32 v69, v69, v12
	v_sub_f32_e32 v15, v9, v8
	v_mul_u32_u24_sdwa v64, v64, v72 dst_sel:DWORD dst_unused:UNUSED_PAD src0_sel:WORD_0 src1_sel:DWORD
	v_sub_f32_e32 v71, v12, v8
	v_fma_f32 v81, -0.5, v68, v33
	v_fmac_f32_e32 v33, -0.5, v120
	v_sub_f32_e32 v68, v21, v1
	v_add_f32_e32 v69, v69, v8
	v_sub_f32_e32 v12, v12, v22
	v_sub_f32_e32 v8, v8, v9
	v_fmamk_f32 v120, v119, 0xbf737871, v33
	v_fmac_f32_e32 v33, 0x3f737871, v119
	v_add3_u32 v79, 0, v64, v66
	v_add_f32_e32 v64, v58, v60
	v_add_f32_e32 v8, v12, v8
	v_fmac_f32_e32 v120, 0x3f167918, v68
	v_fmac_f32_e32 v33, 0xbf167918, v68
	v_add_f32_e32 v67, v26, v39
	v_fma_f32 v82, -0.5, v64, v34
	v_sub_f32_e32 v64, v22, v9
	v_fmac_f32_e32 v120, 0x3e9e377a, v8
	v_fmac_f32_e32 v33, 0x3e9e377a, v8
	v_add_f32_e32 v8, v21, v1
	v_add_f32_e32 v14, v14, v15
	;; [unrolled: 1-line block ×4, first 2 shown]
	v_fmamk_f32 v117, v64, 0xbf737871, v82
	v_add_f32_e32 v69, v69, v9
	v_add_f32_e32 v9, v39, v62
	v_sub_f32_e32 v22, v51, v39
	v_sub_f32_e32 v12, v56, v62
	v_add_f32_e32 v121, v34, v21
	v_fmac_f32_e32 v34, -0.5, v8
	v_fma_f32 v66, -0.5, v67, v26
	v_sub_f32_e32 v67, v35, v55
	v_fmamk_f32 v118, v68, 0x3f737871, v81
	v_fmac_f32_e32 v117, 0xbf167918, v71
	v_fmac_f32_e32 v26, -0.5, v9
	v_add_f32_e32 v9, v22, v12
	v_sub_f32_e32 v12, v58, v21
	v_sub_f32_e32 v22, v60, v1
	v_fmamk_f32 v122, v71, 0x3f737871, v34
	v_fmamk_f32 v70, v67, 0x3f737871, v66
	v_sub_f32_e32 v72, v48, v50
	v_fmac_f32_e32 v118, 0x3f167918, v119
	v_fmac_f32_e32 v117, 0x3e9e377a, v23
	v_add_f32_e32 v12, v12, v22
	v_fmac_f32_e32 v81, 0xbf737871, v68
	v_fmac_f32_e32 v34, 0xbf737871, v71
	;; [unrolled: 1-line block ×3, first 2 shown]
	v_add_f32_e32 v15, v15, v56
	v_fmac_f32_e32 v70, 0x3f167918, v72
	v_fmac_f32_e32 v118, 0x3e9e377a, v14
	v_mul_f32_e32 v8, 0x3f167918, v117
	v_fmamk_f32 v21, v72, 0xbf737871, v26
	v_fmac_f32_e32 v26, 0x3f737871, v72
	v_fmac_f32_e32 v34, 0x3f167918, v64
	;; [unrolled: 1-line block ×5, first 2 shown]
	v_add_f32_e32 v15, v15, v62
	v_fmac_f32_e32 v70, 0x3e9e377a, v5
	v_fmac_f32_e32 v8, 0x3f4f1bbd, v118
	;; [unrolled: 1-line block ×8, first 2 shown]
	v_mul_f32_e32 v12, 0x3f737871, v122
	v_mul_f32_e32 v14, 0x3e9e377a, v33
	v_add_f32_e32 v22, v15, v69
	v_add_f32_e32 v64, v70, v8
	v_fmac_f32_e32 v21, 0x3e9e377a, v9
	v_fmac_f32_e32 v66, 0xbf167918, v72
	;; [unrolled: 1-line block ×3, first 2 shown]
	v_mul_f32_e32 v23, 0x3f4f1bbd, v81
	v_fmac_f32_e32 v26, 0x3e9e377a, v9
	v_fmac_f32_e32 v12, 0x3e9e377a, v120
	v_fma_f32 v9, 0x3f737871, v34, -v14
	v_fmac_f32_e32 v66, 0x3e9e377a, v5
	v_fma_f32 v5, 0x3f167918, v82, -v23
	ds_write2_b32 v79, v22, v64 offset1:30
	v_add_f32_e32 v14, v21, v12
	v_add_f32_e32 v22, v26, v9
	v_sub_f32_e32 v15, v15, v69
	v_add_f32_e32 v23, v66, v5
	v_sub_f32_e32 v12, v21, v12
	v_sub_f32_e32 v21, v49, v41
	ds_write2_b32 v79, v14, v22 offset0:60 offset1:90
	v_sub_f32_e32 v14, v32, v38
	v_sub_f32_e32 v8, v70, v8
	ds_write2_b32 v79, v23, v15 offset0:120 offset1:150
	ds_write2_b32 v79, v8, v12 offset0:180 offset1:210
	v_sub_f32_e32 v8, v26, v9
	v_add_f32_e32 v9, v14, v21
	v_sub_f32_e32 v15, v18, v42
	v_sub_f32_e32 v21, v0, v43
	;; [unrolled: 1-line block ×5, first 2 shown]
	v_mul_u32_u24_e32 v22, 0x4b0, v52
	v_add_f32_e32 v15, v15, v21
	v_add_f32_e32 v21, v28, v19
	v_lshlrev_b32_sdwa v23, v24, v57 dst_sel:DWORD dst_unused:UNUSED_PAD src0_sel:DWORD src1_sel:WORD_0
	v_add_f32_e32 v12, v12, v14
	v_add_f32_e32 v14, v38, v41
	;; [unrolled: 1-line block ×7, first 2 shown]
	v_add3_u32 v119, 0, v22, v23
	v_add_f32_e32 v21, v21, v7
	v_add_f32_e32 v22, v25, v32
	v_fma_f32 v14, -0.5, v14, v25
	v_fma_f32 v123, -0.5, v26, v28
	;; [unrolled: 1-line block ×3, first 2 shown]
	v_sub_f32_e32 v26, v19, v4
	v_sub_f32_e32 v52, v11, v7
	v_add_f32_e32 v21, v21, v4
	v_sub_f32_e32 v4, v7, v4
	v_sub_f32_e32 v7, v42, v43
	v_fmac_f32_e32 v28, -0.5, v68
	v_fmac_f32_e32 v25, -0.5, v66
	v_add_f32_e32 v66, v18, v0
	v_sub_f32_e32 v64, v18, v0
	v_sub_f32_e32 v11, v11, v19
	v_fmamk_f32 v125, v7, 0xbf737871, v28
	v_add_f32_e32 v126, v29, v18
	v_fmac_f32_e32 v29, -0.5, v66
	v_fmac_f32_e32 v28, 0x3f737871, v7
	v_fmamk_f32 v128, v26, 0xbf737871, v124
	v_add_f32_e32 v4, v11, v4
	v_sub_f32_e32 v11, v42, v18
	v_sub_f32_e32 v18, v43, v0
	v_fmac_f32_e32 v125, 0x3f167918, v64
	v_fmamk_f32 v127, v52, 0x3f737871, v29
	v_fmac_f32_e32 v28, 0xbf167918, v64
	v_fmamk_f32 v129, v64, 0x3f737871, v123
	v_fmac_f32_e32 v123, 0xbf737871, v64
	v_sub_f32_e32 v23, v30, v40
	v_fmac_f32_e32 v29, 0xbf737871, v52
	v_fmac_f32_e32 v128, 0xbf167918, v52
	v_add_f32_e32 v11, v11, v18
	v_fmac_f32_e32 v127, 0xbf167918, v26
	v_fmac_f32_e32 v125, 0x3e9e377a, v4
	;; [unrolled: 1-line block ×3, first 2 shown]
	v_sub_f32_e32 v4, v36, v37
	v_fmac_f32_e32 v124, 0x3f737871, v26
	v_fmac_f32_e32 v123, 0xbf167918, v7
	v_add_f32_e32 v22, v22, v38
	v_fmamk_f32 v57, v23, 0x3f737871, v14
	v_fmac_f32_e32 v29, 0x3f167918, v26
	v_fmac_f32_e32 v129, 0x3f167918, v7
	;; [unrolled: 1-line block ×3, first 2 shown]
	v_sub_f32_e32 v67, v38, v32
	v_sub_f32_e32 v19, v41, v49
	v_fmac_f32_e32 v127, 0x3e9e377a, v11
	v_fmamk_f32 v18, v4, 0xbf737871, v25
	v_fmac_f32_e32 v25, 0x3f737871, v4
	v_fmac_f32_e32 v14, 0xbf737871, v23
	;; [unrolled: 1-line block ×5, first 2 shown]
	v_add_f32_e32 v11, v22, v41
	v_fmac_f32_e32 v57, 0x3f167918, v4
	v_fmac_f32_e32 v129, 0x3e9e377a, v12
	v_mul_f32_e32 v7, 0x3f167918, v128
	v_sub_f32_e32 v132, v20, v2
	v_add_f32_e32 v2, v77, v59
	v_add_f32_e32 v19, v67, v19
	v_fmac_f32_e32 v18, 0x3f167918, v23
	v_fmac_f32_e32 v25, 0xbf167918, v23
	v_mul_f32_e32 v12, 0x3f737871, v127
	v_mul_f32_e32 v23, 0x3e9e377a, v28
	v_fmac_f32_e32 v14, 0xbf167918, v4
	v_fmac_f32_e32 v124, 0x3e9e377a, v15
	v_mul_f32_e32 v4, 0x3f4f1bbd, v123
	v_add_f32_e32 v11, v11, v49
	v_fmac_f32_e32 v57, 0x3e9e377a, v9
	v_fmac_f32_e32 v7, 0x3f4f1bbd, v129
	v_add_f32_e32 v2, v2, v61
	v_fmac_f32_e32 v18, 0x3e9e377a, v19
	v_fmac_f32_e32 v25, 0x3e9e377a, v19
	;; [unrolled: 1-line block ×3, first 2 shown]
	v_fma_f32 v15, 0x3f737871, v29, -v23
	v_fmac_f32_e32 v14, 0x3e9e377a, v9
	v_fma_f32 v4, 0x3f167918, v124, -v4
	v_add_nc_u32_e32 v130, 0x200, v79
	v_add_f32_e32 v22, v11, v21
	v_add_f32_e32 v9, v57, v7
	v_mul_f32_e32 v116, 0xbf167918, v116
	v_add_f32_e32 v2, v2, v63
	v_add_f32_e32 v19, v18, v12
	;; [unrolled: 1-line block ×3, first 2 shown]
	v_sub_f32_e32 v11, v11, v21
	v_add_f32_e32 v21, v14, v4
	v_sub_f32_e32 v7, v57, v7
	v_sub_f32_e32 v12, v18, v12
	ds_write2_b32 v130, v8, v5 offset0:112 offset1:142
	ds_write2_b32 v119, v22, v9 offset1:30
	ds_write2_b32 v119, v19, v23 offset0:60 offset1:90
	ds_write2_b32 v119, v21, v11 offset0:120 offset1:150
	;; [unrolled: 1-line block ×3, first 2 shown]
	v_add_f32_e32 v7, v61, v63
	v_fmac_f32_e32 v116, 0x3f4f1bbd, v115
	v_add_f32_e32 v115, v2, v65
	v_add_f32_e32 v2, v59, v65
	v_sub_f32_e32 v134, v16, v10
	v_fma_f32 v133, -0.5, v7, v77
	v_add_f32_e32 v8, v13, v17
	v_sub_f32_e32 v7, v59, v61
	v_fmac_f32_e32 v77, -0.5, v2
	v_sub_f32_e32 v9, v65, v63
	v_fmamk_f32 v135, v132, 0xbf737871, v133
	v_sub_f32_e32 v59, v61, v59
	v_sub_f32_e32 v61, v63, v65
	v_fmamk_f32 v63, v134, 0x3f737871, v77
	v_fmac_f32_e32 v77, 0xbf737871, v134
	v_fmac_f32_e32 v133, 0x3f737871, v132
	v_add_f32_e32 v6, v8, v6
	v_add_f32_e32 v136, v7, v9
	v_fmac_f32_e32 v135, 0xbf167918, v134
	v_add_f32_e32 v59, v59, v61
	v_fmac_f32_e32 v63, 0xbf167918, v132
	v_fmac_f32_e32 v77, 0x3f167918, v132
	v_mul_f32_e32 v65, 0xbf737871, v78
	v_mul_f32_e32 v54, 0x3e9e377a, v54
	v_fmac_f32_e32 v133, 0x3f167918, v134
	v_mul_f32_e32 v76, 0x3f4f1bbd, v76
	v_add_f32_e32 v137, v6, v3
	v_fmac_f32_e32 v135, 0x3e9e377a, v136
	v_fmac_f32_e32 v63, 0x3e9e377a, v59
	;; [unrolled: 1-line block ×4, first 2 shown]
	v_fma_f32 v53, 0xbf737871, v53, -v54
	v_fmac_f32_e32 v133, 0x3e9e377a, v136
	v_fma_f32 v54, 0xbf167918, v75, -v76
	v_sub_f32_e32 v5, v25, v15
	v_sub_f32_e32 v4, v14, v4
	v_add_nc_u32_e32 v131, 0x200, v119
	v_add_f32_e32 v61, v115, v137
	v_add_f32_e32 v59, v135, v116
	;; [unrolled: 1-line block ×4, first 2 shown]
	v_sub_f32_e32 v78, v115, v137
	v_add_f32_e32 v80, v133, v54
	v_lshl_add_u32 v22, v85, 2, 0
	v_sub_f32_e32 v115, v135, v116
	v_sub_f32_e32 v63, v63, v65
	v_lshl_add_u32 v23, v86, 2, 0
	ds_write2_b32 v131, v5, v4 offset0:112 offset1:142
	s_waitcnt lgkmcnt(0)
	s_barrier
	buffer_gl0_inv
	v_lshl_add_u32 v25, v88, 2, 0
	v_lshl_add_u32 v26, v89, 2, 0
	ds_read_b32 v72, v94
	ds_read_b32 v71, v96
	;; [unrolled: 1-line block ×10, first 2 shown]
	ds_read2_b32 v[20:21], v101 offset0:132 offset1:222
	ds_read2_b32 v[18:19], v98 offset0:8 offset1:98
	;; [unrolled: 1-line block ×10, first 2 shown]
	s_waitcnt lgkmcnt(0)
	s_barrier
	buffer_gl0_inv
	ds_write2_b32 v74, v61, v59 offset1:30
	ds_write2_b32 v74, v75, v76 offset0:60 offset1:90
	ds_write2_b32 v74, v80, v78 offset0:120 offset1:150
	;; [unrolled: 1-line block ×3, first 2 shown]
	v_sub_f32_e32 v59, v35, v48
	v_sub_f32_e32 v61, v55, v50
	;; [unrolled: 1-line block ×3, first 2 shown]
	v_add_f32_e32 v56, v48, v50
	v_add_f32_e32 v58, v121, v58
	v_sub_f32_e32 v39, v39, v62
	v_add_f32_e32 v62, v73, v35
	v_add_f32_e32 v59, v59, v61
	;; [unrolled: 1-line block ×3, first 2 shown]
	v_fma_f32 v56, -0.5, v56, v73
	v_add_f32_e32 v58, v58, v60
	v_add_f32_e32 v60, v62, v48
	v_sub_f32_e32 v35, v48, v35
	v_fmac_f32_e32 v73, -0.5, v61
	v_fmamk_f32 v61, v39, 0xbf737871, v56
	v_sub_f32_e32 v48, v50, v55
	v_add_f32_e32 v60, v60, v50
	v_fmac_f32_e32 v56, 0x3f737871, v39
	v_fmamk_f32 v50, v51, 0x3f737871, v73
	v_fmac_f32_e32 v73, 0xbf737871, v51
	v_add_f32_e32 v1, v58, v1
	v_mul_f32_e32 v58, 0xbf167918, v118
	v_fmac_f32_e32 v61, 0xbf167918, v51
	v_add_f32_e32 v35, v35, v48
	v_fmac_f32_e32 v50, 0xbf167918, v39
	v_fmac_f32_e32 v73, 0x3f167918, v39
	v_mul_f32_e32 v39, 0xbf737871, v120
	v_mul_f32_e32 v34, 0x3e9e377a, v34
	v_fmac_f32_e32 v56, 0x3f167918, v51
	v_mul_f32_e32 v51, 0x3f4f1bbd, v82
	v_fmac_f32_e32 v58, 0x3f4f1bbd, v117
	v_add_f32_e32 v55, v60, v55
	v_fmac_f32_e32 v61, 0x3e9e377a, v59
	v_fmac_f32_e32 v50, 0x3e9e377a, v35
	;; [unrolled: 1-line block ×4, first 2 shown]
	v_fma_f32 v33, 0xbf737871, v33, -v34
	v_fmac_f32_e32 v56, 0x3e9e377a, v59
	v_fma_f32 v34, 0xbf167918, v81, -v51
	v_sub_f32_e32 v53, v77, v53
	v_sub_f32_e32 v54, v133, v54
	v_add_f32_e32 v48, v55, v1
	v_add_f32_e32 v35, v61, v58
	;; [unrolled: 1-line block ×4, first 2 shown]
	v_sub_f32_e32 v1, v55, v1
	v_add_f32_e32 v55, v56, v34
	v_sub_f32_e32 v58, v61, v58
	v_sub_f32_e32 v39, v50, v39
	ds_write2_b32 v27, v53, v54 offset0:112 offset1:142
	ds_write2_b32 v79, v48, v35 offset1:30
	ds_write2_b32 v79, v51, v59 offset0:60 offset1:90
	ds_write2_b32 v79, v55, v1 offset0:120 offset1:150
	;; [unrolled: 1-line block ×3, first 2 shown]
	v_add_f32_e32 v35, v36, v37
	v_sub_f32_e32 v1, v73, v33
	v_add_f32_e32 v33, v126, v42
	v_sub_f32_e32 v32, v32, v49
	v_sub_f32_e32 v38, v38, v41
	v_add_f32_e32 v41, v31, v30
	v_fma_f32 v35, -0.5, v35, v31
	v_add_f32_e32 v42, v30, v40
	v_sub_f32_e32 v27, v56, v34
	v_sub_f32_e32 v34, v30, v36
	;; [unrolled: 1-line block ×3, first 2 shown]
	v_add_f32_e32 v33, v33, v43
	v_add_f32_e32 v41, v41, v36
	v_fmamk_f32 v43, v32, 0xbf737871, v35
	v_fmac_f32_e32 v31, -0.5, v42
	v_add_f32_e32 v34, v34, v39
	v_mul_f32_e32 v39, 0xbf167918, v129
	v_add_f32_e32 v0, v33, v0
	v_add_f32_e32 v33, v41, v37
	v_fmac_f32_e32 v43, 0xbf167918, v38
	v_sub_f32_e32 v30, v36, v30
	v_sub_f32_e32 v36, v37, v40
	v_fmamk_f32 v37, v38, 0x3f737871, v31
	v_fmac_f32_e32 v31, 0xbf737871, v38
	v_fmac_f32_e32 v35, 0x3f737871, v32
	;; [unrolled: 1-line block ×3, first 2 shown]
	v_add_f32_e32 v33, v33, v40
	v_fmac_f32_e32 v43, 0x3e9e377a, v34
	v_add_f32_e32 v30, v30, v36
	v_fmac_f32_e32 v37, 0xbf167918, v32
	v_mul_f32_e32 v36, 0xbf737871, v125
	v_fmac_f32_e32 v31, 0x3f167918, v32
	v_mul_f32_e32 v29, 0x3e9e377a, v29
	;; [unrolled: 2-line block ×3, first 2 shown]
	v_add_f32_e32 v40, v33, v0
	v_fmac_f32_e32 v37, 0x3e9e377a, v30
	v_fmac_f32_e32 v36, 0x3e9e377a, v127
	v_fmac_f32_e32 v31, 0x3e9e377a, v30
	v_fma_f32 v28, 0xbf737871, v28, -v29
	v_add_f32_e32 v29, v43, v39
	ds_write2_b32 v130, v1, v27 offset0:112 offset1:142
	ds_write2_b32 v119, v40, v29 offset1:30
	v_fmac_f32_e32 v35, 0x3e9e377a, v34
	v_fma_f32 v1, 0xbf167918, v123, -v32
	v_add_f32_e32 v30, v37, v36
	v_add_f32_e32 v38, v31, v28
	v_sub_f32_e32 v27, v33, v0
	v_sub_f32_e32 v29, v43, v39
	v_add_f32_e32 v32, v35, v1
	v_sub_f32_e32 v33, v35, v1
	v_mov_b32_e32 v1, 0
	ds_write2_b32 v119, v30, v38 offset0:60 offset1:90
	v_sub_f32_e32 v30, v37, v36
	v_lshlrev_b32_e32 v0, 1, v83
	v_sub_f32_e32 v31, v31, v28
	ds_write2_b32 v119, v32, v27 offset0:120 offset1:150
	ds_write2_b32 v119, v29, v30 offset0:180 offset1:210
	v_lshlrev_b32_e32 v27, 1, v110
	v_mov_b32_e32 v28, v1
	v_lshlrev_b64 v[29:30], 3, v[0:1]
	ds_write2_b32 v131, v31, v33 offset0:112 offset1:142
	v_subrev_nc_u32_e32 v33, 30, v83
	v_mov_b32_e32 v37, v1
	v_lshlrev_b64 v[31:32], 3, v[27:28]
	v_add_nc_u32_e32 v62, 0x78, v0
	v_add_co_u32 v27, s0, s12, v29
	v_add_co_ci_u32_e64 v28, s0, s13, v30, s0
	v_add_co_u32 v29, s0, s12, v31
	v_add_co_ci_u32_e64 v30, s0, s13, v32, s0
	v_cmp_gt_u32_e64 s0, 30, v83
	v_lshlrev_b32_e32 v31, 1, v111
	v_mov_b32_e32 v32, v1
	v_mov_b32_e32 v63, v1
	s_waitcnt lgkmcnt(0)
	v_cndmask_b32_e64 v33, v33, v84, s0
	v_add_co_u32 v34, s0, 0x800, v27
	v_lshlrev_b64 v[31:32], 3, v[31:32]
	v_add_co_ci_u32_e64 v35, s0, 0, v28, s0
	v_lshlrev_b32_e32 v36, 1, v33
	v_add_co_u32 v42, s0, 0x800, v29
	v_add_co_ci_u32_e64 v43, s0, 0, v30, s0
	v_lshlrev_b64 v[36:37], 3, v[36:37]
	v_add_co_u32 v31, s0, s12, v31
	v_add_co_ci_u32_e64 v32, s0, s13, v32, s0
	s_barrier
	v_add_co_u32 v38, s0, s12, v36
	v_add_co_ci_u32_e64 v39, s0, s13, v37, s0
	v_add_co_u32 v36, s0, 0x800, v31
	v_add_co_ci_u32_e64 v37, s0, 0, v32, s0
	;; [unrolled: 2-line block ×3, first 2 shown]
	buffer_gl0_inv
	s_clause 0x3
	global_load_dwordx4 v[38:41], v[34:35], off offset:328
	global_load_dwordx4 v[48:51], v[42:43], off offset:328
	;; [unrolled: 1-line block ×4, first 2 shown]
	v_lshlrev_b64 v[34:35], 3, v[62:63]
	v_add_nc_u32_e32 v0, 0x12c, v0
	v_lshrrev_b16 v36, 2, v87
	v_mov_b32_e32 v62, 0x6d3b
	v_lshrrev_b16 v37, 2, v88
	v_lshrrev_b16 v73, 2, v89
	v_add_co_u32 v42, s0, s12, v34
	v_add_co_ci_u32_e64 v43, s0, s13, v35, s0
	v_lshlrev_b64 v[34:35], 3, v[0:1]
	v_mul_u32_u24_sdwa v0, v36, v62 dst_sel:DWORD dst_unused:UNUSED_PAD src0_sel:WORD_0 src1_sel:DWORD
	v_mul_u32_u24_sdwa v63, v37, v62 dst_sel:DWORD dst_unused:UNUSED_PAD src0_sel:WORD_0 src1_sel:DWORD
	v_add_co_u32 v36, s0, 0x800, v42
	v_add_co_ci_u32_e64 v37, s0, 0, v43, s0
	v_lshrrev_b32_e32 v0, 21, v0
	v_lshrrev_b32_e32 v42, 21, v63
	v_add_co_u32 v34, s0, s12, v34
	v_add_co_ci_u32_e64 v35, s0, s13, v35, s0
	v_mul_lo_u16 v63, 0x12c, v0
	v_mul_lo_u16 v65, 0x12c, v42
	v_add_co_u32 v42, s0, 0x800, v34
	v_add_co_ci_u32_e64 v43, s0, 0, v35, s0
	v_sub_nc_u16 v34, v87, v63
	v_mov_b32_e32 v35, 4
	v_sub_nc_u16 v63, v88, v65
	v_mul_u32_u24_sdwa v65, v73, v62 dst_sel:DWORD dst_unused:UNUSED_PAD src0_sel:WORD_0 src1_sel:DWORD
	v_lshrrev_b16 v81, 2, v90
	s_clause 0x1
	global_load_dwordx4 v[73:76], v[36:37], off offset:328
	global_load_dwordx4 v[77:80], v[42:43], off offset:328
	v_lshlrev_b32_sdwa v36, v35, v34 dst_sel:DWORD dst_unused:UNUSED_PAD src0_sel:DWORD src1_sel:WORD_0
	v_and_b32_e32 v35, 0xffff, v63
	v_lshrrev_b32_e32 v37, 21, v65
	v_mul_u32_u24_sdwa v42, v81, v62 dst_sel:DWORD dst_unused:UNUSED_PAD src0_sel:WORD_0 src1_sel:DWORD
	v_mul_u32_u24_e32 v0, 0xe10, v0
	v_add_co_u32 v36, s0, s12, v36
	v_mul_lo_u16 v37, 0x12c, v37
	v_lshrrev_b32_e32 v63, 21, v42
	v_add_co_ci_u32_e64 v43, null, s13, 0, s0
	v_lshlrev_b32_e32 v62, 4, v35
	v_add_co_u32 v42, s0, 0x800, v36
	v_sub_nc_u16 v36, v89, v37
	v_mul_lo_u16 v37, 0x12c, v63
	v_add_co_ci_u32_e64 v43, s0, 0, v43, s0
	v_add_co_u32 v62, s0, s12, v62
	v_sub_nc_u16 v37, v90, v37
	v_add_co_ci_u32_e64 v63, null, s13, 0, s0
	v_and_b32_e32 v36, 0xffff, v36
	v_add_co_u32 v62, s0, 0x800, v62
	v_and_b32_e32 v37, 0xffff, v37
	v_add_co_ci_u32_e64 v63, s0, 0, v63, s0
	v_lshlrev_b32_e32 v65, 4, v36
	s_clause 0x1
	global_load_dwordx4 v[115:118], v[42:43], off offset:328
	global_load_dwordx4 v[119:122], v[62:63], off offset:328
	v_lshlrev_b32_e32 v42, 4, v37
	v_add_co_u32 v43, s0, s12, v65
	v_add_co_ci_u32_e64 v62, null, s13, 0, s0
	v_add_co_u32 v63, s0, s12, v42
	v_add_co_ci_u32_e64 v65, null, s13, 0, s0
	v_add_co_u32 v42, s0, 0x800, v43
	v_add_co_ci_u32_e64 v43, s0, 0, v62, s0
	v_add_co_u32 v62, s0, 0x800, v63
	v_add_co_ci_u32_e64 v63, s0, 0, v65, s0
	s_clause 0x1
	global_load_dwordx4 v[123:126], v[42:43], off offset:328
	global_load_dwordx4 v[127:130], v[62:63], off offset:328
	ds_read2_b32 v[42:43], v101 offset0:132 offset1:222
	ds_read2_b32 v[62:63], v98 offset0:8 offset1:98
	;; [unrolled: 1-line block ×4, first 2 shown]
	v_cmp_lt_u32_e64 s0, 29, v83
	s_waitcnt vmcnt(9) lgkmcnt(3)
	v_mul_f32_e32 v65, v42, v39
	v_mul_f32_e32 v131, v20, v39
	s_waitcnt lgkmcnt(2)
	v_mul_f32_e32 v39, v62, v41
	v_mul_f32_e32 v41, v18, v41
	s_waitcnt vmcnt(7)
	v_mul_f32_e32 v134, v16, v56
	v_fma_f32 v20, v20, v38, -v65
	v_fmac_f32_e32 v131, v42, v38
	v_fma_f32 v65, v18, v40, -v39
	v_mul_f32_e32 v18, v43, v49
	v_mul_f32_e32 v42, v63, v51
	ds_read2_b32 v[38:39], v97 offset0:108 offset1:198
	v_fmac_f32_e32 v41, v62, v40
	v_mul_f32_e32 v40, v21, v49
	v_mul_f32_e32 v62, v19, v51
	v_fma_f32 v21, v21, v48, -v18
	v_fma_f32 v132, v19, v50, -v42
	ds_read2_b32 v[18:19], v99 offset0:112 offset1:202
	s_waitcnt lgkmcnt(3)
	v_mul_f32_e32 v49, v81, v54
	v_fmac_f32_e32 v62, v63, v50
	v_mul_f32_e32 v63, v14, v54
	s_waitcnt vmcnt(6)
	v_mul_f32_e32 v42, v82, v59
	v_mul_f32_e32 v59, v15, v59
	v_fma_f32 v133, v14, v53, -v49
	s_waitcnt lgkmcnt(2)
	v_mul_f32_e32 v14, v110, v56
	v_fmac_f32_e32 v63, v81, v53
	v_fmac_f32_e32 v134, v110, v55
	v_fma_f32 v110, v15, v58, -v42
	v_fmac_f32_e32 v40, v43, v48
	v_fma_f32 v81, v16, v55, -v14
	v_mul_f32_e32 v16, v111, v61
	ds_read2_b32 v[14:15], v108 offset0:160 offset1:250
	v_fmac_f32_e32 v59, v82, v58
	v_mul_f32_e32 v58, v17, v61
	v_fma_f32 v61, v17, v60, -v16
	ds_read2_b32 v[16:17], v100 offset0:36 offset1:126
	s_waitcnt vmcnt(5) lgkmcnt(3)
	v_mul_f32_e32 v42, v38, v74
	v_mul_f32_e32 v51, v12, v74
	;; [unrolled: 1-line block ×3, first 2 shown]
	v_fmac_f32_e32 v58, v111, v60
	s_waitcnt vmcnt(4)
	v_mul_f32_e32 v60, v13, v78
	v_fma_f32 v48, v12, v73, -v42
	s_waitcnt lgkmcnt(2)
	v_mul_f32_e32 v12, v18, v76
	v_mul_f32_e32 v42, v19, v80
	v_fmac_f32_e32 v51, v38, v73
	v_mul_f32_e32 v38, v39, v78
	v_fmac_f32_e32 v54, v18, v75
	v_fma_f32 v73, v10, v75, -v12
	v_fma_f32 v75, v11, v79, -v42
	v_mul_f32_e32 v76, v11, v80
	ds_read2_b32 v[10:11], v109 offset0:88 offset1:178
	v_fma_f32 v74, v13, v77, -v38
	ds_read2_b32 v[12:13], v107 offset0:84 offset1:174
	v_fmac_f32_e32 v60, v39, v77
	v_fmac_f32_e32 v76, v19, v79
	s_waitcnt vmcnt(3) lgkmcnt(3)
	v_mul_f32_e32 v18, v14, v116
	v_mul_f32_e32 v77, v6, v116
	s_waitcnt lgkmcnt(2)
	v_mul_f32_e32 v38, v16, v118
	v_mul_f32_e32 v55, v8, v118
	s_waitcnt vmcnt(2)
	v_mul_f32_e32 v80, v7, v120
	v_fma_f32 v78, v6, v115, -v18
	v_mul_f32_e32 v6, v15, v120
	v_fma_f32 v79, v8, v117, -v38
	v_mul_f32_e32 v8, v17, v122
	v_fmac_f32_e32 v77, v14, v115
	v_fmac_f32_e32 v55, v16, v117
	v_fma_f32 v82, v7, v119, -v6
	v_mul_f32_e32 v56, v9, v122
	v_fma_f32 v111, v9, v121, -v8
	v_fmac_f32_e32 v80, v15, v119
	v_add_f32_e32 v9, v69, v110
	v_fmac_f32_e32 v56, v17, v121
	s_waitcnt vmcnt(1) lgkmcnt(1)
	v_mul_f32_e32 v7, v10, v126
	s_waitcnt lgkmcnt(0)
	v_mul_f32_e32 v6, v12, v124
	v_mul_f32_e32 v42, v2, v126
	s_waitcnt vmcnt(0)
	v_mul_f32_e32 v8, v13, v128
	v_mul_f32_e32 v43, v4, v124
	v_fma_f32 v53, v2, v125, -v7
	v_add_f32_e32 v2, v20, v65
	v_fma_f32 v49, v4, v123, -v6
	v_mul_f32_e32 v4, v11, v130
	v_fma_f32 v50, v5, v127, -v8
	v_mul_f32_e32 v115, v5, v128
	v_add_f32_e32 v5, v72, v20
	v_fmac_f32_e32 v72, -0.5, v2
	v_sub_f32_e32 v2, v131, v41
	v_mul_f32_e32 v116, v3, v130
	v_fma_f32 v117, v3, v129, -v4
	v_add_f32_e32 v3, v21, v132
	v_add_f32_e32 v6, v133, v81
	v_fmamk_f32 v4, v2, 0x3f5db3d7, v72
	v_fmac_f32_e32 v72, 0xbf5db3d7, v2
	v_add_f32_e32 v2, v71, v21
	v_add_f32_e32 v5, v5, v65
	v_fmac_f32_e32 v71, -0.5, v3
	v_sub_f32_e32 v3, v40, v62
	v_add_f32_e32 v8, v70, v133
	v_fmac_f32_e32 v70, -0.5, v6
	v_sub_f32_e32 v6, v63, v134
	v_add_f32_e32 v2, v2, v132
	v_fmac_f32_e32 v43, v12, v123
	v_fmac_f32_e32 v42, v10, v125
	;; [unrolled: 1-line block ×3, first 2 shown]
	ds_read_b32 v118, v94
	ds_read_b32 v119, v96
	;; [unrolled: 1-line block ×10, first 2 shown]
	s_waitcnt lgkmcnt(0)
	s_barrier
	buffer_gl0_inv
	ds_write_b32 v94, v5
	ds_write_b32 v94, v4 offset:1200
	v_lshlrev_b32_e32 v4, 2, v33
	v_cndmask_b32_e64 v5, 0, 0xe10, s0
	v_add_f32_e32 v7, v110, v61
	v_fmamk_f32 v10, v3, 0x3f5db3d7, v71
	v_fmac_f32_e32 v71, 0xbf5db3d7, v3
	ds_write_b32 v94, v72 offset:2400
	ds_write_b32 v96, v2
	v_add_f32_e32 v2, v8, v81
	v_fmamk_f32 v3, v6, 0x3f5db3d7, v70
	v_fmac_f32_e32 v70, 0xbf5db3d7, v6
	v_add3_u32 v72, 0, v5, v4
	v_add_f32_e32 v4, v9, v61
	v_fmac_f32_e32 v69, -0.5, v7
	v_sub_f32_e32 v7, v59, v58
	ds_write_b32 v96, v10 offset:1200
	ds_write_b32 v96, v71 offset:2400
	ds_write_b32 v102, v2
	ds_write_b32 v102, v3 offset:1200
	ds_write_b32 v102, v70 offset:2400
	ds_write_b32 v72, v4
	v_add_f32_e32 v2, v48, v73
	v_add_f32_e32 v3, v74, v75
	v_fmamk_f32 v6, v7, 0x3f5db3d7, v69
	v_add_f32_e32 v4, v67, v48
	v_add_f32_e32 v5, v68, v74
	v_fmac_f32_e32 v67, -0.5, v2
	v_sub_f32_e32 v2, v51, v54
	v_fmac_f32_e32 v69, 0xbf5db3d7, v7
	ds_write_b32 v72, v6 offset:1200
	v_fmac_f32_e32 v68, -0.5, v3
	v_sub_f32_e32 v3, v60, v76
	v_fmamk_f32 v6, v2, 0x3f5db3d7, v67
	v_fmac_f32_e32 v67, 0xbf5db3d7, v2
	v_add_f32_e32 v2, v131, v41
	v_add_f32_e32 v4, v4, v73
	;; [unrolled: 1-line block ×3, first 2 shown]
	v_add_nc_u32_e32 v70, 0xe00, v94
	v_fmamk_f32 v7, v3, 0x3f5db3d7, v68
	v_fmac_f32_e32 v68, 0xbf5db3d7, v3
	ds_write_b32 v72, v69 offset:2400
	ds_write2_b32 v70, v4, v5 offset0:64 offset1:154
	v_add_f32_e32 v3, v40, v62
	v_add_f32_e32 v4, v118, v131
	v_fmac_f32_e32 v118, -0.5, v2
	v_sub_f32_e32 v2, v20, v65
	ds_write2_b32 v97, v6, v7 offset0:108 offset1:198
	ds_write2_b32 v107, v67, v68 offset0:24 offset1:114
	v_add_f32_e32 v5, v119, v40
	v_fmac_f32_e32 v119, -0.5, v3
	v_sub_f32_e32 v3, v21, v132
	v_fmamk_f32 v67, v2, 0xbf5db3d7, v118
	v_fmac_f32_e32 v118, 0x3f5db3d7, v2
	v_add_f32_e32 v2, v63, v134
	v_add_f32_e32 v65, v4, v41
	v_fmamk_f32 v68, v3, 0xbf5db3d7, v119
	v_fmac_f32_e32 v119, 0x3f5db3d7, v3
	v_add_f32_e32 v3, v59, v58
	v_add_f32_e32 v4, v120, v63
	v_fmac_f32_e32 v120, -0.5, v2
	v_sub_f32_e32 v2, v133, v81
	v_add_f32_e32 v62, v5, v62
	v_add_f32_e32 v5, v124, v59
	v_fmac_f32_e32 v124, -0.5, v3
	v_sub_f32_e32 v3, v110, v61
	v_add_f32_e32 v59, v4, v134
	v_fmamk_f32 v61, v2, 0xbf5db3d7, v120
	v_fmac_f32_e32 v120, 0x3f5db3d7, v2
	v_add_f32_e32 v2, v78, v79
	v_add_f32_e32 v4, v82, v111
	;; [unrolled: 1-line block ×5, first 2 shown]
	v_fmac_f32_e32 v66, -0.5, v2
	v_sub_f32_e32 v2, v77, v55
	v_fmac_f32_e32 v57, -0.5, v4
	v_sub_f32_e32 v4, v80, v56
	v_add_f32_e32 v7, v49, v53
	v_lshlrev_b32_sdwa v10, v24, v34 dst_sel:DWORD dst_unused:UNUSED_PAD src0_sel:DWORD src1_sel:WORD_0
	v_fmac_f32_e32 v116, v11, v129
	v_fmamk_f32 v63, v3, 0xbf5db3d7, v124
	v_fmac_f32_e32 v124, 0x3f5db3d7, v3
	v_fmamk_f32 v3, v2, 0x3f5db3d7, v66
	;; [unrolled: 2-line block ×3, first 2 shown]
	v_fmac_f32_e32 v57, 0xbf5db3d7, v4
	v_add_f32_e32 v4, v52, v49
	v_fmac_f32_e32 v52, -0.5, v7
	v_add_f32_e32 v7, v50, v117
	v_add3_u32 v0, 0, v0, v10
	v_add_f32_e32 v5, v5, v79
	v_sub_f32_e32 v8, v43, v42
	v_add_f32_e32 v9, v64, v50
	v_fmac_f32_e32 v64, -0.5, v7
	v_sub_f32_e32 v7, v115, v116
	v_add_f32_e32 v6, v6, v111
	v_lshl_add_u32 v69, v35, 2, 0
	ds_write_b32 v0, v5
	ds_write_b32 v0, v3 offset:1200
	ds_write_b32 v0, v66 offset:2400
	;; [unrolled: 1-line block ×3, first 2 shown]
	v_add_f32_e32 v3, v4, v53
	v_lshl_add_u32 v66, v36, 2, 0
	v_fmamk_f32 v11, v8, 0x3f5db3d7, v52
	v_fmac_f32_e32 v52, 0xbf5db3d7, v8
	v_fmamk_f32 v8, v7, 0x3f5db3d7, v64
	ds_write_b32 v69, v2 offset:8400
	v_add_f32_e32 v2, v9, v117
	v_lshl_add_u32 v71, v37, 2, 0
	v_fmac_f32_e32 v64, 0xbf5db3d7, v7
	ds_write_b32 v69, v57 offset:9600
	ds_write_b32 v66, v3 offset:7200
	;; [unrolled: 1-line block ×7, first 2 shown]
	s_waitcnt lgkmcnt(0)
	s_barrier
	buffer_gl0_inv
	ds_read_b32 v36, v114
	ds_read_b32 v38, v113
	;; [unrolled: 1-line block ×10, first 2 shown]
	ds_read2_b32 v[18:19], v101 offset0:132 offset1:222
	ds_read2_b32 v[20:21], v98 offset0:8 offset1:98
	ds_read2_b32 v[2:3], v95 offset0:56 offset1:146
	ds_read2_b32 v[4:5], v106 offset0:60 offset1:150
	ds_read2_b32 v[6:7], v97 offset0:108 offset1:198
	ds_read2_b32 v[8:9], v99 offset0:112 offset1:202
	ds_read2_b32 v[10:11], v108 offset0:160 offset1:250
	ds_read2_b32 v[12:13], v100 offset0:36 offset1:126
	ds_read2_b32 v[14:15], v107 offset0:84 offset1:174
	ds_read2_b32 v[16:17], v109 offset0:88 offset1:178
	v_add_f32_e32 v52, v121, v51
	v_add_f32_e32 v57, v122, v60
	;; [unrolled: 1-line block ×3, first 2 shown]
	s_waitcnt lgkmcnt(0)
	s_barrier
	buffer_gl0_inv
	ds_write_b32 v94, v65
	ds_write_b32 v94, v67 offset:1200
	ds_write_b32 v94, v118 offset:2400
	ds_write_b32 v96, v62
	ds_write_b32 v96, v68 offset:1200
	ds_write_b32 v96, v119 offset:2400
	ds_write_b32 v102, v59
	ds_write_b32 v102, v61 offset:1200
	ds_write_b32 v102, v120 offset:2400
	ds_write_b32 v72, v58
	v_add_f32_e32 v58, v60, v76
	v_add_f32_e32 v52, v52, v54
	;; [unrolled: 1-line block ×3, first 2 shown]
	v_fmac_f32_e32 v121, -0.5, v51
	v_sub_f32_e32 v48, v48, v73
	ds_write_b32 v72, v63 offset:1200
	v_fmac_f32_e32 v122, -0.5, v58
	v_sub_f32_e32 v51, v74, v75
	ds_write_b32 v72, v124 offset:2400
	ds_write2_b32 v70, v52, v54 offset0:64 offset1:154
	v_add_f32_e32 v54, v77, v55
	v_fmamk_f32 v52, v48, 0xbf5db3d7, v121
	v_fmac_f32_e32 v121, 0x3f5db3d7, v48
	v_add_f32_e32 v48, v126, v77
	v_fmamk_f32 v57, v51, 0xbf5db3d7, v122
	v_fmac_f32_e32 v122, 0x3f5db3d7, v51
	v_fmac_f32_e32 v126, -0.5, v54
	v_sub_f32_e32 v51, v78, v79
	v_add_f32_e32 v48, v48, v55
	v_add_f32_e32 v55, v123, v80
	ds_write2_b32 v97, v52, v57 offset0:108 offset1:198
	ds_write2_b32 v107, v121, v122 offset0:24 offset1:114
	v_fmamk_f32 v54, v51, 0xbf5db3d7, v126
	v_fmac_f32_e32 v126, 0x3f5db3d7, v51
	ds_write_b32 v0, v48
	v_add_f32_e32 v48, v55, v56
	v_add_f32_e32 v52, v80, v56
	ds_write_b32 v0, v54 offset:1200
	ds_write_b32 v0, v126 offset:2400
	;; [unrolled: 1-line block ×3, first 2 shown]
	v_add_f32_e32 v0, v43, v42
	v_add_f32_e32 v48, v115, v116
	v_fmac_f32_e32 v123, -0.5, v52
	v_sub_f32_e32 v52, v82, v111
	v_add_f32_e32 v43, v125, v43
	v_fmac_f32_e32 v125, -0.5, v0
	v_sub_f32_e32 v0, v49, v53
	;; [unrolled: 3-line block ×3, first 2 shown]
	v_fmamk_f32 v51, v52, 0xbf5db3d7, v123
	v_add_f32_e32 v42, v43, v42
	v_fmac_f32_e32 v123, 0x3f5db3d7, v52
	v_fmamk_f32 v43, v0, 0xbf5db3d7, v125
	v_fmac_f32_e32 v125, 0x3f5db3d7, v0
	v_add_f32_e32 v0, v49, v116
	v_fmamk_f32 v49, v48, 0xbf5db3d7, v127
	ds_write_b32 v69, v51 offset:8400
	ds_write_b32 v69, v123 offset:9600
	v_fmac_f32_e32 v127, 0x3f5db3d7, v48
	ds_write_b32 v66, v42 offset:7200
	ds_write_b32 v66, v43 offset:8400
	;; [unrolled: 1-line block ×6, first 2 shown]
	s_waitcnt lgkmcnt(0)
	s_barrier
	buffer_gl0_inv
	s_and_saveexec_b32 s0, vcc_lo
	s_cbranch_execz .LBB0_15
; %bb.14:
	v_add_co_u32 v31, vcc_lo, 0x1800, v31
	v_add_co_ci_u32_e32 v32, vcc_lo, 0, v32, vcc_lo
	v_add_co_u32 v29, vcc_lo, 0x1800, v29
	v_add_co_ci_u32_e32 v30, vcc_lo, 0, v30, vcc_lo
	v_add_co_u32 v42, vcc_lo, 0x1800, v27
	v_lshlrev_b32_e32 v0, 1, v90
	v_add_co_ci_u32_e32 v43, vcc_lo, 0, v28, vcc_lo
	s_clause 0x2
	global_load_dwordx4 v[48:51], v[31:32], off offset:1032
	global_load_dwordx4 v[28:31], v[29:30], off offset:1032
	global_load_dwordx4 v[52:55], v[42:43], off offset:1032
	v_lshlrev_b64 v[42:43], 3, v[0:1]
	v_mul_hi_u32 v112, 0x91a2b3c5, v83
	v_sub_nc_u32_e32 v82, 0, v103
	v_mul_lo_u32 v90, s5, v46
	v_mul_lo_u32 v111, s4, v47
	v_add_nc_u32_e32 v115, 0xb4, v83
	v_add_co_u32 v0, vcc_lo, s12, v42
	v_add_co_ci_u32_e32 v27, vcc_lo, s13, v43, vcc_lo
	v_add_co_u32 v42, vcc_lo, 0x1800, v0
	v_add_co_ci_u32_e32 v43, vcc_lo, 0, v27, vcc_lo
	v_lshlrev_b32_e32 v0, 1, v89
	global_load_dwordx4 v[56:59], v[42:43], off offset:1032
	v_lshlrev_b64 v[42:43], 3, v[0:1]
	v_lshlrev_b32_e32 v0, 1, v88
	v_add_co_u32 v27, vcc_lo, s12, v42
	v_add_co_ci_u32_e32 v32, vcc_lo, s13, v43, vcc_lo
	v_lshlrev_b64 v[64:65], 3, v[0:1]
	v_add_co_u32 v42, vcc_lo, 0x1800, v27
	v_lshlrev_b32_e32 v0, 1, v87
	v_add_co_ci_u32_e32 v43, vcc_lo, 0, v32, vcc_lo
	v_add_co_u32 v27, vcc_lo, s12, v64
	v_add_co_ci_u32_e32 v32, vcc_lo, s13, v65, vcc_lo
	v_lshlrev_b64 v[68:69], 3, v[0:1]
	global_load_dwordx4 v[60:63], v[42:43], off offset:1032
	v_add_co_u32 v42, vcc_lo, 0x1800, v27
	v_add_co_ci_u32_e32 v43, vcc_lo, 0, v32, vcc_lo
	v_add_co_u32 v0, vcc_lo, s12, v68
	v_add_co_ci_u32_e32 v27, vcc_lo, s13, v69, vcc_lo
	global_load_dwordx4 v[64:67], v[42:43], off offset:1032
	v_add_co_u32 v42, vcc_lo, 0x1800, v0
	v_add_co_ci_u32_e32 v43, vcc_lo, 0, v27, vcc_lo
	v_lshlrev_b32_e32 v0, 1, v86
	v_sub_nc_u32_e32 v32, 0, v104
	global_load_dwordx4 v[68:71], v[42:43], off offset:1032
	v_lshlrev_b64 v[42:43], 3, v[0:1]
	v_add_nc_u32_e32 v32, v92, v32
	v_add_co_u32 v0, vcc_lo, s12, v42
	v_add_co_ci_u32_e32 v27, vcc_lo, s13, v43, vcc_lo
	v_add_co_u32 v42, vcc_lo, 0x1800, v0
	v_add_co_ci_u32_e32 v43, vcc_lo, 0, v27, vcc_lo
	v_lshlrev_b32_e32 v0, 1, v85
	global_load_dwordx4 v[72:75], v[42:43], off offset:1032
	v_lshlrev_b64 v[42:43], 3, v[0:1]
	v_add_co_u32 v0, vcc_lo, s12, v42
	v_add_co_ci_u32_e32 v27, vcc_lo, s13, v43, vcc_lo
	v_add_co_u32 v42, vcc_lo, 0x1800, v0
	v_lshlrev_b32_e32 v0, 1, v84
	v_add_co_ci_u32_e32 v43, vcc_lo, 0, v27, vcc_lo
	v_sub_nc_u32_e32 v27, 0, v105
	v_lshlrev_b64 v[0:1], 3, v[0:1]
	global_load_dwordx4 v[76:79], v[42:43], off offset:1032
	v_add_nc_u32_e32 v92, v91, v27
	v_add_co_u32 v0, vcc_lo, s12, v0
	v_add_co_ci_u32_e32 v1, vcc_lo, s13, v1, vcc_lo
	v_add_co_u32 v0, vcc_lo, 0x1800, v0
	v_add_co_ci_u32_e32 v1, vcc_lo, 0, v1, vcc_lo
	global_load_dwordx4 v[84:87], v[0:1], off offset:1032
	v_mad_u64_u32 v[0:1], null, s4, v46, 0
	ds_read2_b32 v[42:43], v107 offset0:84 offset1:174
	ds_read2_b32 v[46:47], v109 offset0:88 offset1:178
	;; [unrolled: 1-line block ×10, first 2 shown]
	v_lshrrev_b32_e32 v95, 9, v112
	ds_read_b32 v101, v26
	ds_read_b32 v112, v25
	;; [unrolled: 1-line block ×7, first 2 shown]
	v_lshlrev_b64 v[22:23], 3, v[44:45]
	v_add_nc_u32_e32 v44, v93, v82
	v_add3_u32 v1, v1, v111, v90
	v_mul_u32_u24_e32 v25, 0x384, v95
	v_add_nc_u32_e32 v95, 0x5a, v83
	ds_read_b32 v111, v44
	v_lshlrev_b64 v[0:1], 3, v[0:1]
	v_sub_nc_u32_e32 v82, v83, v25
	v_mul_hi_u32 v45, 0x91a2b3c5, v95
	v_mad_u64_u32 v[25:26], null, s2, v82, 0
	v_add_nc_u32_e32 v93, 0x384, v82
	v_add_nc_u32_e32 v118, 0x708, v82
	v_lshrrev_b32_e32 v117, 9, v45
	v_mad_u64_u32 v[26:27], null, s3, v82, v[26:27]
	ds_read_b32 v82, v92
	ds_read_b32 v116, v32
	v_mad_u64_u32 v[44:45], null, s2, v93, 0
	v_mad_u64_u32 v[90:91], null, s2, v118, 0
	v_mul_u32_u24_e32 v32, 0x384, v117
	v_mov_b32_e32 v27, v45
	v_sub_nc_u32_e32 v45, v95, v32
	v_mov_b32_e32 v32, v91
	v_mad_u32_u24 v117, 0xa8c, v117, v45
	s_waitcnt vmcnt(8)
	v_mad_u64_u32 v[91:92], null, s3, v93, v[27:28]
	v_add_co_u32 v27, vcc_lo, s10, v0
	v_add_co_ci_u32_e32 v95, vcc_lo, s11, v1, vcc_lo
	v_mad_u64_u32 v[0:1], null, s3, v118, v[32:33]
	v_lshlrev_b64 v[92:93], 3, v[25:26]
	v_add_co_u32 v26, vcc_lo, v27, v22
	v_add_co_ci_u32_e32 v27, vcc_lo, v95, v23, vcc_lo
	v_mov_b32_e32 v45, v91
	v_mov_b32_e32 v91, v0
	v_add_co_u32 v0, vcc_lo, v26, v92
	v_add_co_ci_u32_e32 v1, vcc_lo, v27, v93, vcc_lo
	s_waitcnt lgkmcnt(13)
	v_mul_f32_e32 v22, v49, v107
	s_waitcnt lgkmcnt(12)
	v_mul_f32_e32 v23, v51, v105
	v_mul_f32_e32 v25, v48, v107
	;; [unrolled: 1-line block ×3, first 2 shown]
	s_waitcnt lgkmcnt(11)
	v_mul_f32_e32 v92, v29, v110
	s_waitcnt lgkmcnt(10)
	v_mul_f32_e32 v93, v31, v98
	v_mul_f32_e32 v105, v28, v110
	;; [unrolled: 1-line block ×3, first 2 shown]
	s_waitcnt vmcnt(7)
	v_mul_f32_e32 v107, v53, v109
	v_mul_f32_e32 v109, v52, v109
	;; [unrolled: 1-line block ×4, first 2 shown]
	v_fma_f32 v22, v2, v48, -v22
	v_fma_f32 v23, v4, v50, -v23
	v_fmac_f32_e32 v25, v2, v49
	v_fmac_f32_e32 v32, v4, v51
	v_fma_f32 v2, v19, v28, -v92
	v_fma_f32 v4, v21, v30, -v93
	v_fmac_f32_e32 v105, v19, v29
	v_fmac_f32_e32 v98, v21, v31
	v_fma_f32 v19, v18, v52, -v107
	v_fmac_f32_e32 v109, v18, v53
	v_fma_f32 v21, v20, v54, -v110
	v_fmac_f32_e32 v97, v20, v55
	v_sub_f32_e32 v20, v22, v23
	v_add_f32_e32 v18, v25, v32
	s_waitcnt lgkmcnt(5)
	v_add_f32_e32 v28, v25, v102
	v_add_f32_e32 v30, v22, v23
	;; [unrolled: 1-line block ×3, first 2 shown]
	v_sub_f32_e32 v54, v2, v4
	v_add_f32_e32 v48, v105, v98
	v_add_f32_e32 v50, v2, v4
	v_add_f32_e32 v2, v40, v2
	s_waitcnt lgkmcnt(3)
	v_add_f32_e32 v52, v109, v94
	v_add_f32_e32 v55, v39, v19
	;; [unrolled: 1-line block ×3, first 2 shown]
	v_sub_f32_e32 v92, v105, v98
	v_sub_f32_e32 v105, v19, v21
	v_add_f32_e32 v53, v19, v21
	v_fma_f32 v29, -0.5, v18, v102
	v_add_f32_e32 v31, v32, v28
	v_fma_f32 v28, -0.5, v30, v41
	;; [unrolled: 2-line block ×3, first 2 shown]
	v_add_f32_e32 v48, v2, v4
	v_add_f32_e32 v19, v97, v52
	;; [unrolled: 1-line block ×3, first 2 shown]
	s_waitcnt vmcnt(6)
	v_mul_f32_e32 v2, v57, v43
	v_mul_f32_e32 v4, v59, v47
	;; [unrolled: 1-line block ×4, first 2 shown]
	v_sub_f32_e32 v25, v25, v32
	global_store_dwordx2 v[0:1], v[18:19], off
	v_fma_f32 v0, v15, v56, -v2
	v_fma_f32 v2, v17, v58, -v4
	v_fmac_f32_e32 v21, v15, v57
	v_fmac_f32_e32 v22, v17, v59
	s_waitcnt vmcnt(5)
	v_mul_f32_e32 v1, v61, v42
	v_mul_f32_e32 v4, v63, v46
	;; [unrolled: 1-line block ×4, first 2 shown]
	v_fma_f32 v40, -0.5, v50, v40
	v_fma_f32 v50, -0.5, v53, v39
	v_fmamk_f32 v53, v20, 0x3f5db3d7, v29
	v_fmac_f32_e32 v29, 0xbf5db3d7, v20
	v_fmamk_f32 v52, v25, 0xbf5db3d7, v28
	v_fmac_f32_e32 v28, 0x3f5db3d7, v25
	v_add_f32_e32 v15, v21, v22
	s_waitcnt lgkmcnt(2)
	v_add_f32_e32 v20, v21, v111
	v_add_f32_e32 v23, v0, v2
	;; [unrolled: 1-line block ×3, first 2 shown]
	v_fma_f32 v32, v14, v60, -v1
	v_fma_f32 v4, v16, v62, -v4
	v_fmac_f32_e32 v17, v14, v61
	v_fmac_f32_e32 v18, v16, v63
	s_waitcnt vmcnt(4)
	v_mul_f32_e32 v16, v65, v81
	v_mul_f32_e32 v39, v67, v89
	;; [unrolled: 1-line block ×4, first 2 shown]
	v_sub_f32_e32 v19, v0, v2
	v_sub_f32_e32 v21, v21, v22
	v_fma_f32 v1, -0.5, v15, v111
	v_add_f32_e32 v15, v22, v20
	v_fma_f32 v0, -0.5, v23, v38
	v_add_f32_e32 v14, v25, v2
	v_sub_f32_e32 v2, v32, v4
	v_add_f32_e32 v20, v17, v18
	v_add_f32_e32 v22, v17, v101
	;; [unrolled: 1-line block ×4, first 2 shown]
	v_fma_f32 v38, v11, v64, -v16
	v_fma_f32 v39, v13, v66, -v39
	v_fmac_f32_e32 v42, v11, v65
	v_fmac_f32_e32 v43, v13, v67
	s_waitcnt vmcnt(3)
	v_mul_f32_e32 v46, v68, v80
	v_mul_f32_e32 v11, v69, v80
	v_mul_f32_e32 v13, v71, v88
	v_mul_f32_e32 v47, v70, v88
	v_sub_f32_e32 v25, v17, v18
	v_fmamk_f32 v17, v19, 0x3f5db3d7, v1
	v_fmac_f32_e32 v1, 0xbf5db3d7, v19
	v_fmamk_f32 v16, v21, 0xbf5db3d7, v0
	v_fmac_f32_e32 v0, 0x3f5db3d7, v21
	v_fma_f32 v19, -0.5, v20, v101
	v_add_f32_e32 v21, v18, v22
	v_add_f32_e32 v20, v32, v4
	v_sub_f32_e32 v4, v38, v39
	v_add_f32_e32 v22, v42, v43
	v_add_f32_e32 v32, v38, v39
	;; [unrolled: 1-line block ×3, first 2 shown]
	v_fmac_f32_e32 v46, v10, v69
	s_waitcnt vmcnt(2)
	v_mul_f32_e32 v57, v73, v104
	v_mul_f32_e32 v58, v75, v100
	v_fma_f32 v18, -0.5, v23, v37
	v_add_f32_e32 v23, v42, v112
	v_sub_f32_e32 v37, v42, v43
	v_fma_f32 v42, v10, v68, -v11
	v_fma_f32 v56, v12, v70, -v13
	v_fmac_f32_e32 v47, v12, v71
	v_mul_f32_e32 v59, v72, v104
	v_mul_f32_e32 v60, v74, v100
	v_fma_f32 v13, -0.5, v22, v112
	v_add_f32_e32 v22, v38, v39
	s_waitcnt lgkmcnt(0)
	v_add_f32_e32 v38, v46, v116
	v_fma_f32 v57, v7, v72, -v57
	v_fma_f32 v58, v9, v74, -v58
	v_fmamk_f32 v11, v2, 0x3f5db3d7, v19
	v_fmac_f32_e32 v19, 0xbf5db3d7, v2
	v_add_f32_e32 v23, v43, v23
	v_fma_f32 v12, -0.5, v32, v24
	v_sub_f32_e32 v2, v42, v56
	v_add_f32_e32 v32, v46, v47
	v_add_f32_e32 v43, v42, v56
	v_add_f32_e32 v42, v36, v42
	v_fmac_f32_e32 v59, v7, v73
	v_fmac_f32_e32 v60, v9, v75
	s_waitcnt vmcnt(1)
	v_mul_f32_e32 v7, v77, v103
	v_mul_f32_e32 v9, v79, v99
	v_sub_f32_e32 v46, v46, v47
	v_mul_f32_e32 v61, v76, v103
	v_mul_f32_e32 v62, v78, v99
	v_add_f32_e32 v39, v47, v38
	v_add_f32_e32 v47, v57, v58
	s_waitcnt vmcnt(0)
	v_mul_f32_e32 v66, v84, v108
	v_mul_f32_e32 v67, v86, v106
	v_fmamk_f32 v10, v25, 0xbf5db3d7, v18
	v_fmac_f32_e32 v18, 0x3f5db3d7, v25
	v_fmamk_f32 v25, v4, 0x3f5db3d7, v13
	v_fmac_f32_e32 v13, 0xbf5db3d7, v4
	;; [unrolled: 2-line block ×3, first 2 shown]
	v_fma_f32 v37, -0.5, v32, v116
	v_add_f32_e32 v38, v42, v56
	v_sub_f32_e32 v4, v57, v58
	v_add_f32_e32 v32, v59, v60
	v_add_f32_e32 v42, v59, v113
	v_sub_f32_e32 v56, v59, v60
	v_add_f32_e32 v57, v35, v57
	v_fma_f32 v59, v6, v76, -v7
	v_fma_f32 v63, v8, v78, -v9
	v_mul_f32_e32 v64, v85, v108
	v_mul_f32_e32 v65, v87, v106
	v_fma_f32 v36, -0.5, v43, v36
	v_fmac_f32_e32 v61, v6, v77
	v_fmac_f32_e32 v62, v8, v79
	v_fma_f32 v8, -0.5, v47, v35
	v_fmac_f32_e32 v66, v3, v85
	v_fmac_f32_e32 v67, v5, v87
	v_fma_f32 v9, -0.5, v32, v113
	v_add_f32_e32 v43, v60, v42
	v_add_f32_e32 v42, v57, v58
	v_sub_f32_e32 v32, v59, v63
	v_add_f32_e32 v47, v59, v63
	v_add_f32_e32 v57, v34, v59
	v_fma_f32 v59, v3, v84, -v64
	v_fma_f32 v60, v5, v86, -v65
	v_fmamk_f32 v7, v2, 0x3f5db3d7, v37
	v_fmac_f32_e32 v37, 0xbf5db3d7, v2
	v_fmamk_f32 v6, v46, 0xbf5db3d7, v36
	v_fmac_f32_e32 v36, 0x3f5db3d7, v46
	v_add_f32_e32 v35, v61, v62
	v_add_f32_e32 v46, v61, v114
	v_fmamk_f32 v2, v56, 0xbf5db3d7, v8
	v_fmac_f32_e32 v8, 0x3f5db3d7, v56
	v_add_f32_e32 v56, v66, v67
	v_fmamk_f32 v3, v4, 0x3f5db3d7, v9
	v_fmac_f32_e32 v9, 0xbf5db3d7, v4
	v_fma_f32 v4, -0.5, v47, v34
	v_add_f32_e32 v34, v57, v63
	v_add_f32_e32 v63, v59, v60
	v_add_nc_u32_e32 v95, 0x384, v117
	v_sub_f32_e32 v58, v61, v62
	v_fma_f32 v5, -0.5, v35, v114
	v_add_f32_e32 v35, v62, v46
	v_sub_f32_e32 v61, v59, v60
	v_add_f32_e32 v62, v66, v82
	v_add_f32_e32 v59, v33, v59
	v_fma_f32 v57, -0.5, v56, v82
	v_sub_f32_e32 v64, v66, v67
	v_fma_f32 v56, -0.5, v63, v33
	v_mul_hi_u32 v66, 0x91a2b3c5, v115
	v_fmamk_f32 v47, v32, 0x3f5db3d7, v5
	v_fmac_f32_e32 v5, 0xbf5db3d7, v32
	v_add_f32_e32 v33, v67, v62
	v_add_f32_e32 v32, v59, v60
	v_fmamk_f32 v59, v61, 0x3f5db3d7, v57
	v_fmac_f32_e32 v57, 0xbf5db3d7, v61
	v_mad_u64_u32 v[60:61], null, s2, v117, 0
	v_mad_u64_u32 v[62:63], null, s2, v95, 0
	v_fmamk_f32 v46, v58, 0xbf5db3d7, v4
	v_fmac_f32_e32 v4, 0x3f5db3d7, v58
	v_fmamk_f32 v58, v64, 0xbf5db3d7, v56
	v_fmac_f32_e32 v56, 0x3f5db3d7, v64
	v_lshlrev_b64 v[64:65], 3, v[90:91]
	v_lshrrev_b32_e32 v69, 9, v66
	v_mad_u64_u32 v[66:67], null, s3, v117, v[61:62]
	v_add_f32_e32 v51, v109, v97
	v_lshlrev_b64 v[44:45], 3, v[44:45]
	v_mad_u64_u32 v[67:68], null, s3, v95, v[63:64]
	v_mul_u32_u24_e32 v63, 0x384, v69
	v_add_nc_u32_e32 v68, 0x708, v117
	v_sub_f32_e32 v107, v109, v97
	v_fma_f32 v51, -0.5, v51, v94
	v_mov_b32_e32 v61, v66
	v_sub_nc_u32_e32 v70, v115, v63
	v_mov_b32_e32 v63, v67
	v_mad_u64_u32 v[66:67], null, s2, v68, 0
	v_add_co_u32 v44, vcc_lo, v26, v44
	v_fmamk_f32 v55, v54, 0x3f5db3d7, v41
	v_fmac_f32_e32 v41, 0xbf5db3d7, v54
	v_fmamk_f32 v54, v92, 0xbf5db3d7, v40
	v_fmac_f32_e32 v40, 0x3f5db3d7, v92
	;; [unrolled: 2-line block ×4, first 2 shown]
	v_add_co_ci_u32_e32 v45, vcc_lo, v27, v45, vcc_lo
	v_mad_u32_u24 v69, 0xa8c, v69, v70
	v_add_co_u32 v64, vcc_lo, v26, v64
	global_store_dwordx2 v[44:45], v[50:51], off
	v_lshlrev_b64 v[44:45], 3, v[60:61]
	v_lshlrev_b64 v[50:51], 3, v[62:63]
	v_mov_b32_e32 v62, v67
	v_add_co_ci_u32_e32 v65, vcc_lo, v27, v65, vcc_lo
	v_mad_u64_u32 v[60:61], null, s2, v69, 0
	v_mad_u64_u32 v[62:63], null, s3, v68, v[62:63]
	v_add_co_u32 v44, vcc_lo, v26, v44
	v_add_f32_e32 v49, v98, v49
	v_add_co_ci_u32_e32 v45, vcc_lo, v27, v45, vcc_lo
	v_add_nc_u32_e32 v70, 0x10e, v83
	global_store_dwordx2 v[64:65], v[92:93], off
	v_add_nc_u32_e32 v68, 0x384, v69
	v_mad_u64_u32 v[63:64], null, s3, v69, v[61:62]
	global_store_dwordx2 v[44:45], v[48:49], off
	v_mul_hi_u32 v45, 0x91a2b3c5, v70
	v_mad_u64_u32 v[64:65], null, s2, v68, 0
	v_add_co_u32 v50, vcc_lo, v26, v50
	v_add_co_ci_u32_e32 v51, vcc_lo, v27, v51, vcc_lo
	v_mov_b32_e32 v67, v62
	v_mov_b32_e32 v61, v63
	v_lshrrev_b32_e32 v63, 9, v45
	v_add_nc_u32_e32 v62, 0x708, v69
	global_store_dwordx2 v[50:51], v[40:41], off
	v_lshlrev_b64 v[40:41], 3, v[66:67]
	v_mov_b32_e32 v44, v65
	v_mul_u32_u24_e32 v65, 0x384, v63
	v_mad_u64_u32 v[48:49], null, s2, v62, 0
	v_lshlrev_b64 v[50:51], 3, v[60:61]
	v_add_co_u32 v40, vcc_lo, v26, v40
	v_sub_nc_u32_e32 v60, v70, v65
	v_mad_u64_u32 v[44:45], null, s3, v68, v[44:45]
	v_add_co_ci_u32_e32 v41, vcc_lo, v27, v41, vcc_lo
	v_mov_b32_e32 v45, v49
	v_mad_u32_u24 v63, 0xa8c, v63, v60
	v_add_co_u32 v49, vcc_lo, v26, v50
	v_add_co_ci_u32_e32 v50, vcc_lo, v27, v51, vcc_lo
	global_store_dwordx2 v[40:41], v[54:55], off
	v_add_nc_u32_e32 v54, 0x168, v83
	v_mov_b32_e32 v65, v44
	v_mad_u64_u32 v[44:45], null, s3, v62, v[45:46]
	v_mad_u64_u32 v[60:61], null, s2, v63, 0
	global_store_dwordx2 v[49:50], v[30:31], off
	v_add_nc_u32_e32 v50, 0x384, v63
	v_mul_hi_u32 v41, 0x91a2b3c5, v54
	v_lshlrev_b64 v[30:31], 3, v[64:65]
	v_mov_b32_e32 v49, v44
	v_mov_b32_e32 v40, v61
	v_mad_u64_u32 v[44:45], null, s2, v50, 0
	v_lshlrev_b64 v[48:49], 3, v[48:49]
	v_lshrrev_b32_e32 v55, 9, v41
	v_mad_u64_u32 v[40:41], null, s3, v63, v[40:41]
	v_add_co_u32 v30, vcc_lo, v26, v30
	v_mov_b32_e32 v41, v45
	v_mul_u32_u24_e32 v45, 0x384, v55
	v_add_co_ci_u32_e32 v31, vcc_lo, v27, v31, vcc_lo
	v_add_co_u32 v48, vcc_lo, v26, v48
	v_add_co_ci_u32_e32 v49, vcc_lo, v27, v49, vcc_lo
	v_mov_b32_e32 v61, v40
	v_sub_nc_u32_e32 v40, v54, v45
	global_store_dwordx2 v[30:31], v[28:29], off
	global_store_dwordx2 v[48:49], v[52:53], off
	v_add_nc_u32_e32 v48, 0x708, v63
	v_add_nc_u32_e32 v53, 0x1c2, v83
	v_mad_u64_u32 v[50:51], null, s3, v50, v[41:42]
	v_mad_u32_u24 v52, 0xa8c, v55, v40
	v_mad_u64_u32 v[30:31], null, s2, v48, 0
	v_mul_hi_u32 v51, 0x91a2b3c5, v53
	v_lshlrev_b64 v[28:29], 3, v[60:61]
	v_mad_u64_u32 v[40:41], null, s2, v52, 0
	v_mov_b32_e32 v45, v50
	v_add_nc_u32_e32 v54, 0x384, v52
	v_mad_u64_u32 v[48:49], null, s3, v48, v[31:32]
	v_lshrrev_b32_e32 v55, 9, v51
	v_add_co_u32 v28, vcc_lo, v26, v28
	v_mad_u64_u32 v[49:50], null, s3, v52, v[41:42]
	v_add_co_ci_u32_e32 v29, vcc_lo, v27, v29, vcc_lo
	v_mul_u32_u24_e32 v60, 0x384, v55
	v_lshlrev_b64 v[44:45], 3, v[44:45]
	v_mad_u64_u32 v[50:51], null, s2, v54, 0
	v_mov_b32_e32 v31, v48
	v_mov_b32_e32 v41, v49
	global_store_dwordx2 v[28:29], v[32:33], off
	v_sub_nc_u32_e32 v33, v53, v60
	v_add_co_u32 v44, vcc_lo, v26, v44
	v_lshlrev_b64 v[28:29], 3, v[30:31]
	v_lshlrev_b64 v[31:32], 3, v[40:41]
	v_add_co_ci_u32_e32 v45, vcc_lo, v27, v45, vcc_lo
	v_mov_b32_e32 v30, v51
	v_add_nc_u32_e32 v52, 0x708, v52
	v_mad_u32_u24 v53, 0xa8c, v55, v33
	global_store_dwordx2 v[44:45], v[56:57], off
	v_add_co_u32 v28, vcc_lo, v26, v28
	v_mad_u64_u32 v[40:41], null, s3, v54, v[30:31]
	v_mad_u64_u32 v[44:45], null, s2, v52, 0
	v_mad_u64_u32 v[48:49], null, s2, v53, 0
	v_add_co_ci_u32_e32 v29, vcc_lo, v27, v29, vcc_lo
	v_mov_b32_e32 v51, v40
	v_add_co_u32 v31, vcc_lo, v26, v31
	v_mov_b32_e32 v30, v45
	v_mov_b32_e32 v33, v49
	v_add_nc_u32_e32 v54, 0x21c, v83
	v_lshlrev_b64 v[40:41], 3, v[50:51]
	v_add_co_ci_u32_e32 v32, vcc_lo, v27, v32, vcc_lo
	v_mad_u64_u32 v[49:50], null, s3, v52, v[30:31]
	v_mad_u64_u32 v[50:51], null, s3, v53, v[33:34]
	v_add_nc_u32_e32 v33, 0x384, v53
	v_mul_hi_u32 v30, 0x91a2b3c5, v54
	v_add_co_u32 v40, vcc_lo, v26, v40
	v_mov_b32_e32 v45, v49
	v_mad_u64_u32 v[51:52], null, s2, v33, 0
	v_mov_b32_e32 v49, v50
	v_add_co_ci_u32_e32 v41, vcc_lo, v27, v41, vcc_lo
	global_store_dwordx2 v[28:29], v[58:59], off
	global_store_dwordx2 v[31:32], v[34:35], off
	v_lshrrev_b32_e32 v34, 9, v30
	v_lshlrev_b64 v[29:30], 3, v[48:49]
	global_store_dwordx2 v[40:41], v[4:5], off
	v_mov_b32_e32 v28, v52
	v_add_nc_u32_e32 v35, 0x708, v53
	v_mul_u32_u24_e32 v40, 0x384, v34
	v_lshlrev_b64 v[4:5], 3, v[44:45]
	v_mad_u64_u32 v[31:32], null, s3, v33, v[28:29]
	v_sub_nc_u32_e32 v28, v54, v40
	v_mad_u64_u32 v[32:33], null, s2, v35, 0
	v_add_co_u32 v4, vcc_lo, v26, v4
	v_mad_u32_u24 v50, 0xa8c, v34, v28
	v_mov_b32_e32 v52, v31
	v_add_co_ci_u32_e32 v5, vcc_lo, v27, v5, vcc_lo
	v_add_co_u32 v28, vcc_lo, v26, v29
	v_mad_u64_u32 v[40:41], null, s2, v50, 0
	v_add_co_ci_u32_e32 v29, vcc_lo, v27, v30, vcc_lo
	v_mov_b32_e32 v30, v33
	v_lshlrev_b64 v[33:34], 3, v[51:52]
	v_add_nc_u32_e32 v52, 0x276, v83
	v_add_nc_u32_e32 v51, 0x384, v50
	v_mad_u64_u32 v[30:31], null, s3, v35, v[30:31]
	v_mov_b32_e32 v31, v41
	v_mul_hi_u32 v41, 0x91a2b3c5, v52
	v_add_co_u32 v44, vcc_lo, v26, v33
	v_add_co_ci_u32_e32 v45, vcc_lo, v27, v34, vcc_lo
	v_mad_u64_u32 v[34:35], null, s2, v51, 0
	v_mov_b32_e32 v33, v30
	v_lshrrev_b32_e32 v30, 9, v41
	global_store_dwordx2 v[4:5], v[46:47], off
	global_store_dwordx2 v[28:29], v[42:43], off
	;; [unrolled: 1-line block ×3, first 2 shown]
	v_mad_u64_u32 v[48:49], null, s3, v50, v[31:32]
	v_add_nc_u32_e32 v42, 0x708, v50
	v_mov_b32_e32 v8, v35
	v_mul_u32_u24_e32 v31, 0x384, v30
	v_lshlrev_b64 v[4:5], 3, v[32:33]
	v_add_nc_u32_e32 v44, 0x2d0, v83
	v_mad_u64_u32 v[28:29], null, s2, v42, 0
	v_mad_u64_u32 v[8:9], null, s3, v51, v[8:9]
	v_sub_nc_u32_e32 v9, v52, v31
	v_mov_b32_e32 v41, v48
	v_add_co_u32 v4, vcc_lo, v26, v4
	v_add_co_ci_u32_e32 v5, vcc_lo, v27, v5, vcc_lo
	v_mad_u32_u24 v43, 0xa8c, v30, v9
	v_mov_b32_e32 v35, v8
	v_lshlrev_b64 v[30:31], 3, v[40:41]
	v_mov_b32_e32 v8, v29
	v_mad_u64_u32 v[32:33], null, s2, v43, 0
	v_lshlrev_b64 v[34:35], 3, v[34:35]
	v_add_co_u32 v30, vcc_lo, v26, v30
	v_mad_u64_u32 v[8:9], null, s3, v42, v[8:9]
	v_mul_hi_u32 v42, 0x91a2b3c5, v44
	v_add_co_ci_u32_e32 v31, vcc_lo, v27, v31, vcc_lo
	v_mov_b32_e32 v9, v33
	v_add_co_u32 v33, vcc_lo, v26, v34
	v_add_co_ci_u32_e32 v34, vcc_lo, v27, v35, vcc_lo
	v_mov_b32_e32 v29, v8
	global_store_dwordx2 v[4:5], v[2:3], off
	global_store_dwordx2 v[30:31], v[38:39], off
	;; [unrolled: 1-line block ×3, first 2 shown]
	v_lshrrev_b32_e32 v30, 9, v42
	v_add_nc_u32_e32 v31, 0x384, v43
	v_mad_u64_u32 v[40:41], null, s3, v43, v[9:10]
	v_lshlrev_b64 v[2:3], 3, v[28:29]
	v_mul_u32_u24_e32 v28, 0x384, v30
	v_add_nc_u32_e32 v34, 0x708, v43
	v_mad_u64_u32 v[4:5], null, s2, v31, 0
	v_sub_nc_u32_e32 v35, v44, v28
	v_mad_u64_u32 v[8:9], null, s2, v34, 0
	v_mov_b32_e32 v33, v40
	v_add_co_u32 v2, vcc_lo, v26, v2
	v_mad_u32_u24 v35, 0xa8c, v30, v35
	v_mad_u64_u32 v[30:31], null, s3, v31, v[5:6]
	v_lshlrev_b64 v[28:29], 3, v[32:33]
	v_mad_u64_u32 v[31:32], null, s3, v34, v[9:10]
	v_mad_u64_u32 v[32:33], null, s2, v35, 0
	v_add_nc_u32_e32 v34, 0x32a, v83
	v_add_co_ci_u32_e32 v3, vcc_lo, v27, v3, vcc_lo
	v_mov_b32_e32 v5, v30
	v_mov_b32_e32 v9, v31
	v_mul_hi_u32 v30, 0x91a2b3c5, v34
	global_store_dwordx2 v[2:3], v[6:7], off
	v_mov_b32_e32 v2, v33
	v_lshlrev_b64 v[3:4], 3, v[4:5]
	v_lshlrev_b64 v[5:6], 3, v[8:9]
	v_add_co_u32 v28, vcc_lo, v26, v28
	v_add_co_ci_u32_e32 v29, vcc_lo, v27, v29, vcc_lo
	v_mad_u64_u32 v[7:8], null, s3, v35, v[2:3]
	v_lshrrev_b32_e32 v8, 9, v30
	v_add_co_u32 v2, vcc_lo, v26, v3
	v_add_co_ci_u32_e32 v3, vcc_lo, v27, v4, vcc_lo
	v_mul_u32_u24_e32 v9, 0x384, v8
	v_add_co_u32 v4, vcc_lo, v26, v5
	v_add_co_ci_u32_e32 v5, vcc_lo, v27, v6, vcc_lo
	v_sub_nc_u32_e32 v9, v34, v9
	global_store_dwordx2 v[28:29], v[22:23], off
	v_add_nc_u32_e32 v22, 0x384, v35
	global_store_dwordx2 v[2:3], v[12:13], off
	global_store_dwordx2 v[4:5], v[24:25], off
	v_mad_u32_u24 v25, 0xa8c, v8, v9
	v_add_nc_u32_e32 v23, 0x708, v35
	v_mov_b32_e32 v33, v7
	v_mad_u64_u32 v[6:7], null, s2, v22, 0
	v_mad_u64_u32 v[8:9], null, s2, v25, 0
	v_mad_u64_u32 v[4:5], null, s2, v23, 0
	v_lshlrev_b64 v[2:3], 3, v[32:33]
	v_add_nc_u32_e32 v30, 0x384, v25
	v_add_nc_u32_e32 v31, 0x708, v25
	v_mad_u64_u32 v[12:13], null, s3, v22, v[7:8]
	v_mad_u64_u32 v[22:23], null, s3, v23, v[5:6]
	;; [unrolled: 1-line block ×3, first 2 shown]
	v_add_co_u32 v2, vcc_lo, v26, v2
	v_add_co_ci_u32_e32 v3, vcc_lo, v27, v3, vcc_lo
	v_mov_b32_e32 v5, v9
	v_mov_b32_e32 v7, v12
	v_mad_u64_u32 v[12:13], null, s2, v31, 0
	global_store_dwordx2 v[2:3], v[20:21], off
	v_mad_u64_u32 v[28:29], null, s3, v25, v[5:6]
	v_mov_b32_e32 v2, v24
	v_mov_b32_e32 v5, v22
	v_lshlrev_b64 v[6:7], 3, v[6:7]
	v_mad_u64_u32 v[2:3], null, s3, v30, v[2:3]
	v_lshlrev_b64 v[4:5], 3, v[4:5]
	v_mov_b32_e32 v3, v13
	v_mov_b32_e32 v9, v28
	v_add_co_u32 v6, vcc_lo, v26, v6
	v_add_co_ci_u32_e32 v7, vcc_lo, v27, v7, vcc_lo
	v_mad_u64_u32 v[20:21], null, s3, v31, v[3:4]
	v_mov_b32_e32 v24, v2
	v_lshlrev_b64 v[8:9], 3, v[8:9]
	v_add_co_u32 v2, vcc_lo, v26, v4
	v_add_co_ci_u32_e32 v3, vcc_lo, v27, v5, vcc_lo
	v_mov_b32_e32 v13, v20
	v_lshlrev_b64 v[4:5], 3, v[23:24]
	v_add_co_u32 v8, vcc_lo, v26, v8
	v_add_co_ci_u32_e32 v9, vcc_lo, v27, v9, vcc_lo
	v_lshlrev_b64 v[12:13], 3, v[12:13]
	v_add_co_u32 v4, vcc_lo, v26, v4
	v_add_co_ci_u32_e32 v5, vcc_lo, v27, v5, vcc_lo
	v_add_co_u32 v12, vcc_lo, v26, v12
	v_add_co_ci_u32_e32 v13, vcc_lo, v27, v13, vcc_lo
	global_store_dwordx2 v[6:7], v[18:19], off
	global_store_dwordx2 v[2:3], v[10:11], off
	;; [unrolled: 1-line block ×5, first 2 shown]
.LBB0_15:
	s_endpgm
	.section	.rodata,"a",@progbits
	.p2align	6, 0x0
	.amdhsa_kernel fft_rtc_fwd_len2700_factors_3_10_10_3_3_wgs_90_tpt_90_halfLds_sp_op_CI_CI_sbrr_dirReg
		.amdhsa_group_segment_fixed_size 0
		.amdhsa_private_segment_fixed_size 0
		.amdhsa_kernarg_size 104
		.amdhsa_user_sgpr_count 6
		.amdhsa_user_sgpr_private_segment_buffer 1
		.amdhsa_user_sgpr_dispatch_ptr 0
		.amdhsa_user_sgpr_queue_ptr 0
		.amdhsa_user_sgpr_kernarg_segment_ptr 1
		.amdhsa_user_sgpr_dispatch_id 0
		.amdhsa_user_sgpr_flat_scratch_init 0
		.amdhsa_user_sgpr_private_segment_size 0
		.amdhsa_wavefront_size32 1
		.amdhsa_uses_dynamic_stack 0
		.amdhsa_system_sgpr_private_segment_wavefront_offset 0
		.amdhsa_system_sgpr_workgroup_id_x 1
		.amdhsa_system_sgpr_workgroup_id_y 0
		.amdhsa_system_sgpr_workgroup_id_z 0
		.amdhsa_system_sgpr_workgroup_info 0
		.amdhsa_system_vgpr_workitem_id 0
		.amdhsa_next_free_vgpr 146
		.amdhsa_next_free_sgpr 31
		.amdhsa_reserve_vcc 1
		.amdhsa_reserve_flat_scratch 0
		.amdhsa_float_round_mode_32 0
		.amdhsa_float_round_mode_16_64 0
		.amdhsa_float_denorm_mode_32 3
		.amdhsa_float_denorm_mode_16_64 3
		.amdhsa_dx10_clamp 1
		.amdhsa_ieee_mode 1
		.amdhsa_fp16_overflow 0
		.amdhsa_workgroup_processor_mode 1
		.amdhsa_memory_ordered 1
		.amdhsa_forward_progress 0
		.amdhsa_shared_vgpr_count 0
		.amdhsa_exception_fp_ieee_invalid_op 0
		.amdhsa_exception_fp_denorm_src 0
		.amdhsa_exception_fp_ieee_div_zero 0
		.amdhsa_exception_fp_ieee_overflow 0
		.amdhsa_exception_fp_ieee_underflow 0
		.amdhsa_exception_fp_ieee_inexact 0
		.amdhsa_exception_int_div_zero 0
	.end_amdhsa_kernel
	.text
.Lfunc_end0:
	.size	fft_rtc_fwd_len2700_factors_3_10_10_3_3_wgs_90_tpt_90_halfLds_sp_op_CI_CI_sbrr_dirReg, .Lfunc_end0-fft_rtc_fwd_len2700_factors_3_10_10_3_3_wgs_90_tpt_90_halfLds_sp_op_CI_CI_sbrr_dirReg
                                        ; -- End function
	.section	.AMDGPU.csdata,"",@progbits
; Kernel info:
; codeLenInByte = 20276
; NumSgprs: 33
; NumVgprs: 146
; ScratchSize: 0
; MemoryBound: 0
; FloatMode: 240
; IeeeMode: 1
; LDSByteSize: 0 bytes/workgroup (compile time only)
; SGPRBlocks: 4
; VGPRBlocks: 18
; NumSGPRsForWavesPerEU: 33
; NumVGPRsForWavesPerEU: 146
; Occupancy: 6
; WaveLimiterHint : 1
; COMPUTE_PGM_RSRC2:SCRATCH_EN: 0
; COMPUTE_PGM_RSRC2:USER_SGPR: 6
; COMPUTE_PGM_RSRC2:TRAP_HANDLER: 0
; COMPUTE_PGM_RSRC2:TGID_X_EN: 1
; COMPUTE_PGM_RSRC2:TGID_Y_EN: 0
; COMPUTE_PGM_RSRC2:TGID_Z_EN: 0
; COMPUTE_PGM_RSRC2:TIDIG_COMP_CNT: 0
	.text
	.p2alignl 6, 3214868480
	.fill 48, 4, 3214868480
	.type	__hip_cuid_33d0471c6cec3a06,@object ; @__hip_cuid_33d0471c6cec3a06
	.section	.bss,"aw",@nobits
	.globl	__hip_cuid_33d0471c6cec3a06
__hip_cuid_33d0471c6cec3a06:
	.byte	0                               ; 0x0
	.size	__hip_cuid_33d0471c6cec3a06, 1

	.ident	"AMD clang version 19.0.0git (https://github.com/RadeonOpenCompute/llvm-project roc-6.4.0 25133 c7fe45cf4b819c5991fe208aaa96edf142730f1d)"
	.section	".note.GNU-stack","",@progbits
	.addrsig
	.addrsig_sym __hip_cuid_33d0471c6cec3a06
	.amdgpu_metadata
---
amdhsa.kernels:
  - .args:
      - .actual_access:  read_only
        .address_space:  global
        .offset:         0
        .size:           8
        .value_kind:     global_buffer
      - .offset:         8
        .size:           8
        .value_kind:     by_value
      - .actual_access:  read_only
        .address_space:  global
        .offset:         16
        .size:           8
        .value_kind:     global_buffer
      - .actual_access:  read_only
        .address_space:  global
        .offset:         24
        .size:           8
        .value_kind:     global_buffer
      - .actual_access:  read_only
        .address_space:  global
        .offset:         32
        .size:           8
        .value_kind:     global_buffer
      - .offset:         40
        .size:           8
        .value_kind:     by_value
      - .actual_access:  read_only
        .address_space:  global
        .offset:         48
        .size:           8
        .value_kind:     global_buffer
      - .actual_access:  read_only
        .address_space:  global
        .offset:         56
        .size:           8
        .value_kind:     global_buffer
      - .offset:         64
        .size:           4
        .value_kind:     by_value
      - .actual_access:  read_only
        .address_space:  global
        .offset:         72
        .size:           8
        .value_kind:     global_buffer
      - .actual_access:  read_only
        .address_space:  global
        .offset:         80
        .size:           8
        .value_kind:     global_buffer
      - .actual_access:  read_only
        .address_space:  global
        .offset:         88
        .size:           8
        .value_kind:     global_buffer
      - .actual_access:  write_only
        .address_space:  global
        .offset:         96
        .size:           8
        .value_kind:     global_buffer
    .group_segment_fixed_size: 0
    .kernarg_segment_align: 8
    .kernarg_segment_size: 104
    .language:       OpenCL C
    .language_version:
      - 2
      - 0
    .max_flat_workgroup_size: 90
    .name:           fft_rtc_fwd_len2700_factors_3_10_10_3_3_wgs_90_tpt_90_halfLds_sp_op_CI_CI_sbrr_dirReg
    .private_segment_fixed_size: 0
    .sgpr_count:     33
    .sgpr_spill_count: 0
    .symbol:         fft_rtc_fwd_len2700_factors_3_10_10_3_3_wgs_90_tpt_90_halfLds_sp_op_CI_CI_sbrr_dirReg.kd
    .uniform_work_group_size: 1
    .uses_dynamic_stack: false
    .vgpr_count:     146
    .vgpr_spill_count: 0
    .wavefront_size: 32
    .workgroup_processor_mode: 1
amdhsa.target:   amdgcn-amd-amdhsa--gfx1030
amdhsa.version:
  - 1
  - 2
...

	.end_amdgpu_metadata
